;; amdgpu-corpus repo=ROCm/rocFFT kind=compiled arch=gfx950 opt=O3
	.text
	.amdgcn_target "amdgcn-amd-amdhsa--gfx950"
	.amdhsa_code_object_version 6
	.protected	fft_rtc_fwd_len1190_factors_17_2_5_7_wgs_255_tpt_85_halfLds_half_op_CI_CI_sbrr_dirReg ; -- Begin function fft_rtc_fwd_len1190_factors_17_2_5_7_wgs_255_tpt_85_halfLds_half_op_CI_CI_sbrr_dirReg
	.globl	fft_rtc_fwd_len1190_factors_17_2_5_7_wgs_255_tpt_85_halfLds_half_op_CI_CI_sbrr_dirReg
	.p2align	8
	.type	fft_rtc_fwd_len1190_factors_17_2_5_7_wgs_255_tpt_85_halfLds_half_op_CI_CI_sbrr_dirReg,@function
fft_rtc_fwd_len1190_factors_17_2_5_7_wgs_255_tpt_85_halfLds_half_op_CI_CI_sbrr_dirReg: ; @fft_rtc_fwd_len1190_factors_17_2_5_7_wgs_255_tpt_85_halfLds_half_op_CI_CI_sbrr_dirReg
; %bb.0:
	s_load_dwordx4 s[12:15], s[0:1], 0x18
	s_load_dwordx4 s[8:11], s[0:1], 0x0
	;; [unrolled: 1-line block ×3, first 2 shown]
	v_mul_u32_u24_e32 v1, 0x304, v0
	v_lshrrev_b32_e32 v2, 16, v1
	s_waitcnt lgkmcnt(0)
	s_load_dwordx2 s[18:19], s[12:13], 0x0
	s_load_dwordx2 s[16:17], s[14:15], 0x0
	v_mad_u64_u32 v[2:3], s[2:3], s2, 3, v[2:3]
	v_mov_b32_e32 v10, 0
	v_mov_b32_e32 v3, v10
	v_cmp_lt_u64_e64 s[2:3], s[10:11], 2
	v_mov_b64_e32 v[8:9], 0
	s_and_b64 vcc, exec, s[2:3]
	v_mov_b64_e32 v[4:5], v[8:9]
	v_mov_b64_e32 v[6:7], v[2:3]
	s_cbranch_vccnz .LBB0_8
; %bb.1:
	s_load_dwordx2 s[2:3], s[0:1], 0x10
	s_add_u32 s20, s14, 8
	s_addc_u32 s21, s15, 0
	s_add_u32 s22, s12, 8
	s_addc_u32 s23, s13, 0
	s_waitcnt lgkmcnt(0)
	s_add_u32 s24, s2, 8
	v_mov_b64_e32 v[8:9], 0
	s_addc_u32 s25, s3, 0
	s_mov_b64 s[26:27], 1
	v_mov_b64_e32 v[4:5], v[8:9]
	v_mov_b64_e32 v[12:13], v[2:3]
.LBB0_2:                                ; =>This Inner Loop Header: Depth=1
	s_load_dwordx2 s[28:29], s[24:25], 0x0
                                        ; implicit-def: $vgpr6_vgpr7
	s_waitcnt lgkmcnt(0)
	v_or_b32_e32 v11, s29, v13
	v_cmp_ne_u64_e32 vcc, 0, v[10:11]
	s_and_saveexec_b64 s[2:3], vcc
	s_xor_b64 s[30:31], exec, s[2:3]
	s_cbranch_execz .LBB0_4
; %bb.3:                                ;   in Loop: Header=BB0_2 Depth=1
	v_cvt_f32_u32_e32 v1, s28
	v_cvt_f32_u32_e32 v3, s29
	s_sub_u32 s2, 0, s28
	s_subb_u32 s3, 0, s29
	v_fmac_f32_e32 v1, 0x4f800000, v3
	v_rcp_f32_e32 v1, v1
	s_nop 0
	v_mul_f32_e32 v1, 0x5f7ffffc, v1
	v_mul_f32_e32 v3, 0x2f800000, v1
	v_trunc_f32_e32 v3, v3
	v_fmac_f32_e32 v1, 0xcf800000, v3
	v_cvt_u32_f32_e32 v3, v3
	v_cvt_u32_f32_e32 v1, v1
	v_mul_lo_u32 v6, s2, v3
	v_mul_hi_u32 v11, s2, v1
	v_mul_lo_u32 v7, s3, v1
	v_add_u32_e32 v11, v11, v6
	v_mul_lo_u32 v16, s2, v1
	v_add_u32_e32 v11, v11, v7
	v_mul_hi_u32 v6, v1, v16
	v_mul_hi_u32 v15, v1, v11
	v_mul_lo_u32 v14, v1, v11
	v_mov_b32_e32 v7, v10
	v_lshl_add_u64 v[6:7], v[6:7], 0, v[14:15]
	v_mul_hi_u32 v15, v3, v16
	v_mul_lo_u32 v16, v3, v16
	v_add_co_u32_e32 v6, vcc, v6, v16
	v_mul_hi_u32 v14, v3, v11
	s_nop 0
	v_addc_co_u32_e32 v6, vcc, v7, v15, vcc
	v_mov_b32_e32 v7, v10
	s_nop 0
	v_addc_co_u32_e32 v15, vcc, 0, v14, vcc
	v_mul_lo_u32 v14, v3, v11
	v_lshl_add_u64 v[6:7], v[6:7], 0, v[14:15]
	v_add_co_u32_e32 v1, vcc, v1, v6
	v_mul_lo_u32 v14, s2, v1
	s_nop 0
	v_addc_co_u32_e32 v3, vcc, v3, v7, vcc
	v_mul_lo_u32 v6, s2, v3
	v_mul_hi_u32 v7, s2, v1
	v_add_u32_e32 v6, v7, v6
	v_mul_lo_u32 v7, s3, v1
	v_add_u32_e32 v11, v6, v7
	v_mul_hi_u32 v17, v3, v14
	v_mul_lo_u32 v18, v3, v14
	v_mul_hi_u32 v7, v1, v11
	v_mul_lo_u32 v6, v1, v11
	v_mul_hi_u32 v14, v1, v14
	v_mov_b32_e32 v15, v10
	v_lshl_add_u64 v[6:7], v[14:15], 0, v[6:7]
	v_add_co_u32_e32 v6, vcc, v6, v18
	v_mul_hi_u32 v16, v3, v11
	s_nop 0
	v_addc_co_u32_e32 v6, vcc, v7, v17, vcc
	v_mul_lo_u32 v14, v3, v11
	s_nop 0
	v_addc_co_u32_e32 v15, vcc, 0, v16, vcc
	v_mov_b32_e32 v7, v10
	v_lshl_add_u64 v[6:7], v[6:7], 0, v[14:15]
	v_add_co_u32_e32 v1, vcc, v1, v6
	v_mul_hi_u32 v14, v12, v1
	s_nop 0
	v_addc_co_u32_e32 v3, vcc, v3, v7, vcc
	v_mad_u64_u32 v[6:7], s[2:3], v12, v3, 0
	v_mov_b32_e32 v15, v10
	v_lshl_add_u64 v[6:7], v[14:15], 0, v[6:7]
	v_mad_u64_u32 v[16:17], s[2:3], v13, v1, 0
	v_add_co_u32_e32 v1, vcc, v6, v16
	v_mad_u64_u32 v[14:15], s[2:3], v13, v3, 0
	s_nop 0
	v_addc_co_u32_e32 v6, vcc, v7, v17, vcc
	v_mov_b32_e32 v7, v10
	s_nop 0
	v_addc_co_u32_e32 v15, vcc, 0, v15, vcc
	v_lshl_add_u64 v[6:7], v[6:7], 0, v[14:15]
	v_mul_lo_u32 v1, s29, v6
	v_mul_lo_u32 v3, s28, v7
	v_mad_u64_u32 v[14:15], s[2:3], s28, v6, 0
	v_add3_u32 v1, v15, v3, v1
	v_sub_u32_e32 v3, v13, v1
	v_mov_b32_e32 v11, s29
	v_sub_co_u32_e32 v18, vcc, v12, v14
	v_lshl_add_u64 v[16:17], v[6:7], 0, 1
	s_nop 0
	v_subb_co_u32_e64 v3, s[2:3], v3, v11, vcc
	v_subrev_co_u32_e64 v11, s[2:3], s28, v18
	v_subb_co_u32_e32 v1, vcc, v13, v1, vcc
	s_nop 0
	v_subbrev_co_u32_e64 v3, s[2:3], 0, v3, s[2:3]
	v_cmp_le_u32_e64 s[2:3], s29, v3
	v_cmp_le_u32_e32 vcc, s29, v1
	s_nop 0
	v_cndmask_b32_e64 v14, 0, -1, s[2:3]
	v_cmp_le_u32_e64 s[2:3], s28, v11
	s_nop 1
	v_cndmask_b32_e64 v11, 0, -1, s[2:3]
	v_cmp_eq_u32_e64 s[2:3], s29, v3
	s_nop 1
	v_cndmask_b32_e64 v3, v14, v11, s[2:3]
	v_lshl_add_u64 v[14:15], v[6:7], 0, 2
	v_cmp_ne_u32_e64 s[2:3], 0, v3
	v_cndmask_b32_e64 v11, 0, -1, vcc
	v_cmp_le_u32_e32 vcc, s28, v18
	v_cndmask_b32_e64 v3, v17, v15, s[2:3]
	s_nop 0
	v_cndmask_b32_e64 v15, 0, -1, vcc
	v_cmp_eq_u32_e32 vcc, s29, v1
	s_nop 1
	v_cndmask_b32_e32 v1, v11, v15, vcc
	v_cmp_ne_u32_e32 vcc, 0, v1
	v_cndmask_b32_e64 v1, v16, v14, s[2:3]
	s_nop 0
	v_cndmask_b32_e32 v7, v7, v3, vcc
	v_cndmask_b32_e32 v6, v6, v1, vcc
.LBB0_4:                                ;   in Loop: Header=BB0_2 Depth=1
	s_andn2_saveexec_b64 s[2:3], s[30:31]
	s_cbranch_execz .LBB0_6
; %bb.5:                                ;   in Loop: Header=BB0_2 Depth=1
	v_cvt_f32_u32_e32 v1, s28
	s_sub_i32 s30, 0, s28
	v_rcp_iflag_f32_e32 v1, v1
	s_nop 0
	v_mul_f32_e32 v1, 0x4f7ffffe, v1
	v_cvt_u32_f32_e32 v1, v1
	v_mul_lo_u32 v3, s30, v1
	v_mul_hi_u32 v3, v1, v3
	v_add_u32_e32 v1, v1, v3
	v_mul_hi_u32 v1, v12, v1
	v_mul_lo_u32 v3, v1, s28
	v_sub_u32_e32 v3, v12, v3
	v_add_u32_e32 v6, 1, v1
	v_subrev_u32_e32 v7, s28, v3
	v_cmp_le_u32_e32 vcc, s28, v3
	s_nop 1
	v_cndmask_b32_e32 v3, v3, v7, vcc
	v_cndmask_b32_e32 v1, v1, v6, vcc
	v_add_u32_e32 v6, 1, v1
	v_cmp_le_u32_e32 vcc, s28, v3
	v_mov_b32_e32 v7, v10
	s_nop 0
	v_cndmask_b32_e32 v6, v1, v6, vcc
.LBB0_6:                                ;   in Loop: Header=BB0_2 Depth=1
	s_or_b64 exec, exec, s[2:3]
	v_mad_u64_u32 v[14:15], s[2:3], v6, s28, 0
	s_load_dwordx2 s[2:3], s[22:23], 0x0
	s_add_u32 s26, s26, 1
	v_mul_lo_u32 v1, v7, s28
	v_mul_lo_u32 v3, v6, s29
	s_load_dwordx2 s[28:29], s[20:21], 0x0
	s_addc_u32 s27, s27, 0
	v_add3_u32 v1, v15, v3, v1
	v_sub_co_u32_e32 v3, vcc, v12, v14
	s_add_u32 s20, s20, 8
	s_nop 0
	v_subb_co_u32_e32 v1, vcc, v13, v1, vcc
	s_addc_u32 s21, s21, 0
	s_waitcnt lgkmcnt(0)
	v_mul_lo_u32 v11, s2, v1
	v_mul_lo_u32 v12, s3, v3
	v_mad_u64_u32 v[8:9], s[2:3], s2, v3, v[8:9]
	s_add_u32 s22, s22, 8
	v_add3_u32 v9, v12, v9, v11
	s_addc_u32 s23, s23, 0
	v_mov_b64_e32 v[12:13], s[10:11]
	v_mul_lo_u32 v1, s28, v1
	v_mul_lo_u32 v11, s29, v3
	v_mad_u64_u32 v[4:5], s[2:3], s28, v3, v[4:5]
	s_add_u32 s24, s24, 8
	v_cmp_ge_u64_e32 vcc, s[26:27], v[12:13]
	v_add3_u32 v5, v11, v5, v1
	s_addc_u32 s25, s25, 0
	s_cbranch_vccnz .LBB0_8
; %bb.7:                                ;   in Loop: Header=BB0_2 Depth=1
	v_mov_b64_e32 v[12:13], v[6:7]
	s_branch .LBB0_2
.LBB0_8:
	s_load_dwordx2 s[0:1], s[0:1], 0x28
	s_lshl_b64 s[20:21], s[10:11], 3
	s_mov_b32 s10, 0x3030304
	v_mul_hi_u32 v1, v0, s10
	v_mul_u32_u24_e32 v1, 0x55, v1
	s_waitcnt lgkmcnt(0)
	v_cmp_gt_u64_e32 vcc, s[0:1], v[6:7]
	v_sub_u32_e32 v10, v0, v1
	s_movk_i32 s0, 0x46
	s_add_u32 s2, s14, s20
	v_cmp_gt_u32_e64 s[0:1], s0, v10
	s_addc_u32 s3, s15, s21
	s_and_b64 s[14:15], vcc, s[0:1]
	v_mov_b32_e32 v0, 0
	v_mov_b32_e32 v20, 0
                                        ; implicit-def: $vgpr17
                                        ; implicit-def: $vgpr1
                                        ; implicit-def: $vgpr18
                                        ; implicit-def: $vgpr3
                                        ; implicit-def: $vgpr19
                                        ; implicit-def: $vgpr12
                                        ; implicit-def: $vgpr21
                                        ; implicit-def: $vgpr13
                                        ; implicit-def: $vgpr22
                                        ; implicit-def: $vgpr14
                                        ; implicit-def: $vgpr23
                                        ; implicit-def: $vgpr15
                                        ; implicit-def: $vgpr24
                                        ; implicit-def: $vgpr16
                                        ; implicit-def: $vgpr25
                                        ; implicit-def: $vgpr34
                                        ; implicit-def: $vgpr26
                                        ; implicit-def: $vgpr35
                                        ; implicit-def: $vgpr27
                                        ; implicit-def: $vgpr36
                                        ; implicit-def: $vgpr28
                                        ; implicit-def: $vgpr37
                                        ; implicit-def: $vgpr29
                                        ; implicit-def: $vgpr38
                                        ; implicit-def: $vgpr30
                                        ; implicit-def: $vgpr39
                                        ; implicit-def: $vgpr31
                                        ; implicit-def: $vgpr42
                                        ; implicit-def: $vgpr32
                                        ; implicit-def: $vgpr41
                                        ; implicit-def: $vgpr33
                                        ; implicit-def: $vgpr40
	s_and_saveexec_b64 s[10:11], s[14:15]
	s_cbranch_execz .LBB0_10
; %bb.9:
	s_add_u32 s12, s12, s20
	s_addc_u32 s13, s13, s21
	s_load_dwordx2 s[12:13], s[12:13], 0x0
	s_waitcnt lgkmcnt(0)
	v_mul_lo_u32 v3, s13, v6
	v_mul_lo_u32 v11, s12, v7
	v_mad_u64_u32 v[0:1], s[12:13], s12, v6, 0
	v_mad_u64_u32 v[12:13], s[12:13], s18, v10, 0
	v_add3_u32 v1, v1, v11, v3
	v_mov_b32_e32 v14, v13
	v_mad_u64_u32 v[14:15], s[12:13], s19, v10, v[14:15]
	v_lshl_add_u64 v[0:1], v[0:1], 2, s[4:5]
	v_add_u32_e32 v3, 0x46, v10
	v_mov_b32_e32 v13, v14
	v_lshl_add_u64 v[8:9], v[8:9], 2, v[0:1]
	v_mad_u64_u32 v[0:1], s[4:5], s18, v3, 0
	v_lshl_add_u64 v[18:19], v[12:13], 2, v[8:9]
	v_mov_b32_e32 v12, v1
	v_mad_u64_u32 v[12:13], s[4:5], s19, v3, v[12:13]
	v_mov_b32_e32 v1, v12
	v_add_u32_e32 v3, 0x8c, v10
	v_lshl_add_u64 v[22:23], v[0:1], 2, v[8:9]
	v_mad_u64_u32 v[0:1], s[4:5], s18, v3, 0
	v_mov_b32_e32 v12, v1
	v_mad_u64_u32 v[12:13], s[4:5], s19, v3, v[12:13]
	v_mov_b32_e32 v1, v12
	v_add_u32_e32 v3, 0xd2, v10
	v_lshl_add_u64 v[24:25], v[0:1], 2, v[8:9]
	v_mad_u64_u32 v[0:1], s[4:5], s18, v3, 0
	;; [unrolled: 6-line block ×6, first 2 shown]
	v_mov_b32_e32 v12, v1
	v_mad_u64_u32 v[12:13], s[4:5], s19, v3, v[12:13]
	v_mov_b32_e32 v1, v12
	v_lshl_add_u64 v[34:35], v[0:1], 2, v[8:9]
	global_load_dword v20, v[18:19], off
	global_load_dword v1, v[22:23], off
	;; [unrolled: 1-line block ×8, first 2 shown]
	v_add_u32_e32 v11, 0x230, v10
	v_mad_u64_u32 v[18:19], s[4:5], s18, v11, 0
	v_mov_b32_e32 v0, v19
	s_waitcnt vmcnt(6)
	v_mad_u64_u32 v[22:23], s[4:5], s19, v11, v[0:1]
	v_add_u32_e32 v11, 0x276, v10
	v_mov_b32_e32 v19, v22
	v_mad_u64_u32 v[22:23], s[4:5], s18, v11, 0
	v_mov_b32_e32 v0, v23
	v_mad_u64_u32 v[24:25], s[4:5], s19, v11, v[0:1]
	v_add_u32_e32 v11, 0x2bc, v10
	v_mov_b32_e32 v23, v24
	v_mad_u64_u32 v[24:25], s[4:5], s18, v11, 0
	v_mov_b32_e32 v0, v25
	;; [unrolled: 5-line block ×7, first 2 shown]
	v_mad_u64_u32 v[36:37], s[4:5], s19, v11, v[0:1]
	v_lshl_add_u64 v[18:19], v[18:19], 2, v[8:9]
	v_mov_b32_e32 v35, v36
	v_add_u32_e32 v11, 0x460, v10
	v_lshl_add_u64 v[22:23], v[22:23], 2, v[8:9]
	v_lshl_add_u64 v[24:25], v[24:25], 2, v[8:9]
	;; [unrolled: 1-line block ×7, first 2 shown]
	global_load_dword v34, v[18:19], off
	global_load_dword v35, v[22:23], off
	;; [unrolled: 1-line block ×8, first 2 shown]
	v_mad_u64_u32 v[18:19], s[4:5], s18, v11, 0
	v_mov_b32_e32 v0, v19
	v_mad_u64_u32 v[22:23], s[4:5], s19, v11, v[0:1]
	v_mov_b32_e32 v19, v22
	v_lshl_add_u64 v[8:9], v[18:19], 2, v[8:9]
	global_load_dword v42, v[8:9], off
	v_lshrrev_b32_e32 v0, 16, v20
	v_lshrrev_b32_e32 v17, 16, v1
	s_waitcnt vmcnt(14)
	v_lshrrev_b32_e32 v18, 16, v3
	s_waitcnt vmcnt(13)
	;; [unrolled: 2-line block ×15, first 2 shown]
	v_lshrrev_b32_e32 v31, 16, v42
.LBB0_10:
	s_or_b64 exec, exec, s[10:11]
	s_mov_b32 s4, 0xaaaaaaab
	v_mul_hi_u32 v8, v2, s4
	v_lshrrev_b32_e32 v8, 1, v8
	v_lshl_add_u32 v8, v8, 1, v8
	v_sub_u32_e32 v2, v2, v8
	v_add_f16_e32 v49, v1, v42
	v_mul_u32_u24_e32 v8, 0x4a6, v2
	v_sub_f16_e32 v2, v17, v31
	v_mul_f16_e32 v57, 0x3722, v49
	s_mov_b32 s4, 0xbb29
	v_fma_f16 v9, v2, s4, v57
	v_add_f16_e32 v50, v3, v41
	v_add_f16_e32 v11, v20, v9
	v_sub_f16_e32 v9, v18, v32
	v_mul_f16_e32 v58, 0xb8d2, v50
	s_mov_b32 s4, 0xba62
	v_fma_f16 v43, v9, s4, v58
	v_add_f16_e32 v51, v12, v40
	v_add_f16_e32 v11, v11, v43
	v_sub_f16_e32 v43, v19, v33
	v_mul_f16_e32 v59, 0xbbdd, v51
	s_movk_i32 s4, 0x31e1
	v_fma_f16 v44, v43, s4, v59
	v_add_f16_e32 v52, v13, v39
	v_add_f16_e32 v11, v11, v44
	v_sub_f16_e32 v44, v21, v30
	v_mul_f16_e32 v60, 0xb461, v52
	s_movk_i32 s4, 0x3bb2
	;; [unrolled: 6-line block ×3, first 2 shown]
	v_fma_f16 v46, v45, s4, v61
	v_add_f16_e32 v54, v15, v37
	v_add_f16_e32 v11, v46, v11
	v_sub_f16_e32 v46, v23, v28
	v_mul_f16_e32 v62, 0x3b76, v54
	s_mov_b32 s4, 0xb5c8
	v_fma_f16 v47, v46, s4, v62
	v_add_f16_e32 v55, v16, v36
	v_add_f16_e32 v11, v47, v11
	v_sub_f16_e32 v47, v24, v27
	v_mul_f16_e32 v63, 0x2de8, v55
	s_mov_b32 s4, 0xbbf7
	v_fma_f16 v48, v47, s4, v63
	v_add_f16_e32 v56, v34, v35
	v_add_f16_e32 v11, v48, v11
	v_sub_f16_e32 v48, v25, v26
	v_mul_f16_e32 v64, 0xbacd, v56
	s_mov_b32 s4, 0xb836
	v_fma_f16 v65, v48, s4, v64
	s_movk_i32 s10, 0x3722
	s_mov_b32 s11, 0xb8d2
	s_mov_b32 s13, 0xbbdd
	;; [unrolled: 1-line block ×3, first 2 shown]
	s_movk_i32 s14, 0x39e9
	s_movk_i32 s18, 0x3b76
	;; [unrolled: 1-line block ×3, first 2 shown]
	s_mov_b32 s19, 0xbacd
	v_add_f16_e32 v11, v65, v11
	v_lshlrev_b32_e32 v8, 1, v8
	s_and_saveexec_b64 s[4:5], s[0:1]
	s_cbranch_execz .LBB0_12
; %bb.11:
	s_mov_b32 s20, 0xb836ba62
	v_mul_f16_e32 v65, 0xbb29, v2
	v_pk_mul_f16 v74, v2, s20 op_sel_hi:[0,1]
	s_mov_b32 s20, 0x3b293bb2
	v_mul_f16_e32 v66, 0xba62, v9
	v_pk_mul_f16 v75, v9, s20 op_sel_hi:[0,1]
	s_mov_b32 s20, 0xbbf7b5c8
	v_sub_f16_e32 v57, v57, v65
	v_mul_f16_e32 v67, 0x31e1, v43
	v_pk_mul_f16 v76, v43, s20 op_sel_hi:[0,1]
	s_mov_b32 s20, 0x3a62b836
	v_add_f16_e32 v57, v20, v57
	v_sub_f16_e32 v58, v58, v66
	v_mul_f16_e32 v68, 0x3bb2, v44
	v_pk_mul_f16 v77, v44, s20 op_sel_hi:[0,1]
	s_mov_b32 s20, 0xb5c83bf7
	v_add_f16_e32 v57, v57, v58
	;; [unrolled: 5-line block ×6, first 2 shown]
	v_sub_f16_e32 v58, v63, v71
	v_pk_mul_f16 v82, v49, s20 op_sel_hi:[0,1]
	s_mov_b32 s20, 0xbbb2bbf7
	s_mov_b32 s21, 0xbacdbbdd
	v_add_f16_e32 v57, v58, v57
	v_sub_f16_e32 v58, v64, v72
	v_pk_mul_f16 v83, v50, s21 op_sel_hi:[0,1]
	s_mov_b32 s21, 0x3836b1e1
	s_mov_b32 s22, 0x39e9b461
	v_add_f16_e32 v57, v58, v57
	v_pk_fma_f16 v58, v2, s20, v82 op_sel_hi:[0,1,1] neg_lo:[1,0,0] neg_hi:[1,0,0]
	v_pk_mul_f16 v84, v51, s22 op_sel_hi:[0,1]
	s_mov_b32 s22, 0x39643bb2
	s_mov_b32 s23, 0x37223b76
	v_pk_add_f16 v58, v20, v58 op_sel_hi:[0,1]
	v_pk_fma_f16 v59, v9, s21, v83 op_sel_hi:[0,1,1] neg_lo:[1,0,0] neg_hi:[1,0,0]
	v_pk_mul_f16 v85, v52, s23 op_sel_hi:[0,1]
	s_mov_b32 s23, 0xbb2935c8
	s_mov_b32 s24, 0xbbdd3722
	v_pk_add_f16 v58, v58, v59
	v_pk_fma_f16 v59, v43, s22, v84 op_sel_hi:[0,1,1] neg_lo:[1,0,0] neg_hi:[1,0,0]
	v_pk_mul_f16 v86, v53, s24 op_sel_hi:[0,1]
	s_mov_b32 s24, 0xb1e1bb29
	s_mov_b32 s25, 0x2de8bacd
	v_pk_add_f16 v58, v58, v59
	;; [unrolled: 5-line block ×4, first 2 shown]
	v_pk_fma_f16 v59, v46, s25, v87 op_sel_hi:[0,1,1] neg_lo:[1,0,0] neg_hi:[1,0,0]
	v_pk_mul_f16 v65, v56, s27 op_sel_hi:[0,1]
	s_mov_b32 s27, 0xba623964
	v_pk_add_f16 v58, v59, v58
	v_pk_fma_f16 v59, v47, s26, v88 op_sel_hi:[0,1,1] neg_lo:[1,0,0] neg_hi:[1,0,0]
	s_mov_b32 s28, 0xbacdb8d2
	v_pk_add_f16 v58, v59, v58
	v_pk_fma_f16 v59, v48, s27, v65 op_sel_hi:[0,1,1] neg_lo:[1,0,0] neg_hi:[1,0,0]
	;; [unrolled: 3-line block ×3, first 2 shown]
	s_mov_b32 s30, 0x2de83b76
	v_pk_add_f16 v58, v20, v58 op_sel_hi:[0,1]
	v_pk_fma_f16 v59, v50, s29, v75 op_sel_hi:[0,1,1] neg_lo:[0,0,1] neg_hi:[0,0,1]
	s_mov_b32 s33, 0xb8d2bacd
	v_pk_add_f16 v58, v58, v59
	v_pk_fma_f16 v59, v51, s30, v76 op_sel_hi:[0,1,1] neg_lo:[0,0,1] neg_hi:[0,0,1]
	s_mov_b32 s35, 0x3b762de8
	v_pk_add_f16 v58, v58, v59
	;; [unrolled: 3-line block ×4, first 2 shown]
	v_pk_fma_f16 v59, v54, s37, v79 op_sel_hi:[0,1,1] neg_lo:[0,0,1] neg_hi:[0,0,1]
	s_mov_b32 s41, 0xb4613722
	s_mov_b32 s31, 0x39e93b76
	v_pk_add_f16 v58, v59, v58
	v_pk_fma_f16 v59, v55, s39, v80 op_sel_hi:[0,1,1] neg_lo:[0,0,1] neg_hi:[0,0,1]
	v_pk_mul_f16 v62, v49, s31 op_sel_hi:[0,1]
	s_mov_b32 s31, 0xb964b5c8
	s_mov_b32 s34, 0x2de839e9
	v_pk_add_f16 v58, v59, v58
	v_pk_fma_f16 v59, v56, s41, v81 op_sel_hi:[0,1,1] neg_lo:[0,0,1] neg_hi:[0,0,1]
	v_pk_mul_f16 v63, v50, s34 op_sel_hi:[0,1]
	;; [unrolled: 5-line block ×3, first 2 shown]
	s_mov_b32 s36, 0xba62bb29
	s_mov_b32 s38, 0xbbdd2de8
	v_pk_add_f16 v58, v20, v58 op_sel_hi:[0,1]
	v_pk_fma_f16 v59, v9, s34, v63 op_sel_hi:[0,1,1] neg_lo:[1,0,0] neg_hi:[1,0,0]
	v_pk_mul_f16 v66, v52, s38 op_sel_hi:[0,1]
	s_mov_b32 s38, 0xb1e1bbf7
	s_mov_b32 s40, 0xbacdb461
	v_pk_add_f16 v58, v58, v59
	v_pk_fma_f16 v59, v43, s36, v64 op_sel_hi:[0,1,1] neg_lo:[1,0,0] neg_hi:[1,0,0]
	v_pk_mul_f16 v67, v53, s40 op_sel_hi:[0,1]
	s_mov_b32 s40, 0x3836bbb2
	s_mov_b32 s42, 0xb461b8d2
	v_pk_add_f16 v58, v58, v59
	;; [unrolled: 5-line block ×4, first 2 shown]
	v_pk_fma_f16 v59, v46, s42, v68 op_sel_hi:[0,1,1] neg_lo:[1,0,0] neg_hi:[1,0,0]
	v_pk_mul_f16 v70, v56, s44 op_sel_hi:[0,1]
	s_mov_b32 s44, 0x35c8b1e1
	v_pk_add_f16 v58, v59, v58
	v_pk_fma_f16 v59, v47, s43, v69 op_sel_hi:[0,1,1] neg_lo:[1,0,0] neg_hi:[1,0,0]
	v_pk_add_f16 v58, v59, v58
	v_pk_fma_f16 v59, v48, s44, v70 op_sel_hi:[0,1,1] neg_lo:[1,0,0] neg_hi:[1,0,0]
	v_pk_add_f16 v58, v59, v58
	v_mul_u32_u24_e32 v72, 34, v10
	v_alignbit_b32 v59, v57, v58, 16
	v_add_f16_e32 v57, v20, v1
	v_add_f16_e32 v57, v57, v3
	;; [unrolled: 1-line block ×16, first 2 shown]
	v_mul_f16_e32 v73, 0xb1e1, v2
	v_pack_b32_f16 v58, v57, v58
	v_add3_u32 v72, 0, v72, v8
	v_mul_f16_e32 v71, 0x35c8, v9
	ds_write_b128 v72, v[58:61]
	v_fma_f16 v60, v49, s13, -v73
	v_mul_f16_e32 v57, 0xb836, v43
	v_add_f16_e32 v60, v20, v60
	v_fma_f16 v61, v50, s18, -v71
	v_mul_f16_e32 v58, 0x3964, v44
	v_add_f16_e32 v60, v60, v61
	;; [unrolled: 3-line block ×3, first 2 shown]
	v_fma_f16 v61, v52, s14, -v58
	v_add_f16_e32 v60, v61, v60
	v_fma_f16 v61, v53, s11, -v59
	v_add_f16_e32 v60, v61, v60
	v_mul_f16_e32 v61, 0x3b29, v46
	v_fma_f16 v89, v54, s10, -v61
	v_add_f16_e32 v60, v89, v60
	v_mul_f16_e32 v89, 0xbbb2, v47
	;; [unrolled: 3-line block ×3, first 2 shown]
	v_fma_f16 v91, v56, s15, -v90
	v_add_f16_e32 v60, v91, v60
	v_pk_mul_f16 v91, v49, s28 op_sel_hi:[0,1]
	v_add_f16_e32 v92, v74, v91
	v_pk_mul_f16 v93, v50, s29 op_sel_hi:[0,1]
	v_add_f16_e32 v92, v20, v92
	v_add_f16_e32 v94, v75, v93
	;; [unrolled: 1-line block ×3, first 2 shown]
	v_pk_mul_f16 v94, v51, s30 op_sel_hi:[0,1]
	v_add_f16_e32 v95, v76, v94
	s_mov_b32 s10, 0xffff
	v_mul_f16_e32 v49, 0xbbdd, v49
	v_add_f16_e32 v92, v92, v95
	v_pk_mul_f16 v95, v52, s33 op_sel_hi:[0,1]
	v_bfi_b32 v73, s10, v73, v74
	v_bfi_b32 v49, s10, v49, v91
	v_mul_f16_e32 v50, 0x3b76, v50
	v_add_f16_e32 v96, v77, v95
	v_pk_add_f16 v49, v73, v49
	v_bfi_b32 v71, s10, v71, v75
	v_bfi_b32 v50, s10, v50, v93
	v_add_f16_e32 v92, v96, v92
	v_pk_mul_f16 v96, v53, s35 op_sel_hi:[0,1]
	v_pk_add_f16 v50, v71, v50
	v_pk_add_f16 v49, v20, v49 op_sel_hi:[0,1]
	v_mul_f16_e32 v51, 0xbacd, v51
	v_add_f16_e32 v97, v78, v96
	v_pk_add_f16 v49, v49, v50
	v_bfi_b32 v50, s10, v57, v76
	v_bfi_b32 v51, s10, v51, v94
	v_add_f16_e32 v92, v97, v92
	v_pk_mul_f16 v97, v54, s37 op_sel_hi:[0,1]
	v_pk_add_f16 v50, v50, v51
	v_add_f16_e32 v98, v79, v97
	v_pk_add_f16 v49, v49, v50
	v_mul_f16_e32 v50, 0x39e9, v52
	v_add_f16_e32 v92, v98, v92
	v_pk_mul_f16 v98, v55, s39 op_sel_hi:[0,1]
	v_mul_f16_e32 v51, 0xb8d2, v53
	v_mul_f16_e32 v53, 0xb461, v55
	v_bfi_b32 v55, s10, v58, v77
	v_bfi_b32 v50, s10, v50, v95
	v_pk_add_f16 v50, v55, v50
	v_bfi_b32 v51, s10, v51, v96
	v_pk_add_f16 v49, v50, v49
	v_bfi_b32 v50, s10, v59, v78
	v_mul_f16_e32 v52, 0x3722, v54
	v_pk_add_f16 v50, v50, v51
	v_bfi_b32 v51, s10, v52, v97
	v_pk_add_f16 v49, v50, v49
	v_bfi_b32 v50, s10, v61, v79
	v_pk_add_f16 v50, v50, v51
	v_add_f16_e32 v99, v80, v98
	v_pk_add_f16 v49, v50, v49
	v_bfi_b32 v50, s10, v89, v80
	v_bfi_b32 v51, s10, v53, v98
	v_add_f16_e32 v92, v99, v92
	v_pk_mul_f16 v99, v56, s41 op_sel_hi:[0,1]
	v_mul_f16_e32 v54, 0x2de8, v56
	v_pk_add_f16 v50, v50, v51
	v_bfi_b32 v51, s10, v54, v99
	v_pk_add_f16 v49, v50, v49
	v_bfi_b32 v50, s10, v90, v81
	v_pk_add_f16 v50, v50, v51
	v_pk_fma_f16 v51, v9, s21, v83 op_sel_hi:[0,1,1]
	v_pk_add_f16 v49, v50, v49
	v_pk_fma_f16 v50, v2, s20, v82 op_sel_hi:[0,1,1]
	v_pk_fma_f16 v2, v2, s31, v62 op_sel_hi:[0,1,1]
	v_pk_add_f16 v50, v20, v50 op_sel_hi:[0,1]
	v_pk_add_f16 v2, v20, v2 op_sel_hi:[0,1]
	v_pk_fma_f16 v9, v9, s34, v63 op_sel_hi:[0,1,1]
	v_pk_add_f16 v50, v50, v51
	v_pk_fma_f16 v51, v43, s22, v84 op_sel_hi:[0,1,1]
	v_pk_add_f16 v2, v2, v9
	;; [unrolled: 2-line block ×10, first 2 shown]
	v_pk_fma_f16 v9, v47, s43, v69 op_sel_hi:[0,1,1]
	v_add_f16_e32 v100, v81, v99
	v_pk_add_f16 v50, v51, v50
	v_pk_fma_f16 v51, v48, s27, v65 op_sel_hi:[0,1,1]
	v_pk_add_f16 v2, v9, v2
	v_pk_fma_f16 v9, v48, s44, v70 op_sel_hi:[0,1,1]
	v_add_f16_e32 v92, v100, v92
	v_pk_add_f16 v52, v51, v50
	v_pk_add_f16 v2, v9, v2
	v_alignbit_b32 v51, v92, v49, 16
	v_pack_b32_f16 v50, v60, v49
	v_alignbit_b32 v52, v52, v52, 16
	v_alignbit_b32 v2, v2, v2, 16
	ds_write_b96 v72, v[50:52] offset:16
	ds_write_b16 v72, v11 offset:28
	ds_write_b32 v72, v2 offset:30
.LBB0_12:
	s_or_b64 exec, exec, s[4:5]
	v_sub_f16_e32 v61, v1, v42
	s_mov_b32 s5, 0x39643b29
	v_add_f16_e32 v60, v17, v31
	v_sub_f16_e32 v59, v3, v41
	s_mov_b32 s4, 0x39e93722
	v_pk_mul_f16 v3, v61, s5 op_sel_hi:[0,1]
	s_mov_b32 s5, 0x3bf73a62
	v_add_f16_e32 v58, v18, v32
	v_pk_fma_f16 v3, v60, s4, v3 op_sel_hi:[0,1,1]
	s_mov_b32 s4, 0x2de8b8d2
	v_pk_mul_f16 v9, v59, s5 op_sel_hi:[0,1]
	v_sub_f16_e32 v57, v12, v40
	v_pk_add_f16 v3, v0, v3 op_sel_hi:[0,1]
	v_pk_fma_f16 v9, v58, s4, v9 op_sel_hi:[0,1,1]
	s_mov_b32 s5, 0x3a62b1e1
	v_add_f16_e32 v56, v19, v33
	v_pk_add_f16 v3, v3, v9
	s_mov_b32 s4, 0xb8d2bbdd
	v_pk_mul_f16 v9, v57, s5 op_sel_hi:[0,1]
	v_sub_f16_e32 v55, v13, v39
	v_pk_fma_f16 v9, v56, s4, v9 op_sel_hi:[0,1,1]
	s_mov_b32 s5, 0x31e1bbb2
	v_add_f16_e32 v54, v21, v30
	v_pk_add_f16 v3, v3, v9
	s_mov_b32 s4, 0xbbddb461
	v_pk_mul_f16 v9, v55, s5 op_sel_hi:[0,1]
	v_sub_f16_e32 v53, v14, v38
	;; [unrolled: 7-line block ×5, first 2 shown]
	v_pk_fma_f16 v9, v2, s4, v9 op_sel_hi:[0,1,1]
	s_mov_b32 s5, 0xb5c83836
	v_lshlrev_b32_e32 v12, 1, v10
	v_add_f16_e32 v1, v25, v26
	v_pk_add_f16 v3, v9, v3
	s_mov_b32 s4, 0x3b76bacd
	v_pk_mul_f16 v9, v15, s5 op_sel_hi:[0,1]
	v_add_u32_e32 v14, 0, v8
	v_add_u32_e32 v16, 0, v12
	;; [unrolled: 1-line block ×4, first 2 shown]
	v_pk_fma_f16 v62, v1, s4, v9 op_sel_hi:[0,1,1]
	v_add_u32_e32 v9, v14, v12
	v_add_u32_e32 v12, v16, v8
	v_lshl_add_u32 v13, v48, 1, v14
	v_lshl_add_u32 v14, v47, 1, v14
	s_waitcnt lgkmcnt(0)
	s_barrier
	ds_read_u16 v20, v12 offset:1360
	ds_read_u16 v34, v12 offset:1530
	ds_read_u16 v40, v9
	ds_read_u16 v41, v12 offset:170
	ds_read_u16 v42, v12 offset:340
	;; [unrolled: 1-line block ×3, first 2 shown]
	ds_read_u16 v44, v14
	ds_read_u16 v37, v12 offset:1700
	ds_read_u16 v36, v12 offset:1870
	;; [unrolled: 1-line block ×5, first 2 shown]
	ds_read_u16 v46, v13
	ds_read_u16 v38, v12 offset:2210
	s_mov_b32 s10, 0x5040100
	v_pk_add_f16 v3, v62, v3
	s_waitcnt lgkmcnt(0)
	s_barrier
	s_and_saveexec_b64 s[4:5], s[0:1]
	s_cbranch_execz .LBB0_14
; %bb.13:
	v_add_f16_e32 v17, v0, v17
	v_add_f16_e32 v17, v17, v18
	;; [unrolled: 1-line block ×7, first 2 shown]
	s_mov_b32 s1, 0xb461
	v_mul_f16_e32 v18, 0xbbb2, v61
	v_add_f16_e32 v17, v17, v25
	v_fma_f16 v19, v60, s1, v18
	s_mov_b32 s11, 0xbacd
	v_mul_f16_e32 v25, 0x3836, v59
	v_add_f16_e32 v17, v17, v26
	v_add_f16_e32 v19, v0, v19
	v_mul_f16_e32 v22, 0xb1e1, v61
	s_mov_b32 s0, 0xbbdd
	v_fma_f16 v26, v58, s11, v25
	v_fma_f16 v23, v60, s0, v22
	v_add_f16_e32 v19, v19, v26
	v_mul_f16_e32 v26, 0x35c8, v59
	s_movk_i32 s12, 0x3b76
	v_add_f16_e32 v17, v17, v27
	v_add_f16_e32 v23, v0, v23
	v_fma_f16 v27, v58, s12, v26
	v_add_f16_e32 v23, v23, v27
	s_movk_i32 s13, 0x39e9
	v_mul_f16_e32 v27, 0x3964, v57
	v_add_f16_e32 v17, v17, v28
	v_fma_f16 v28, v56, s13, v27
	v_add_f16_e32 v19, v19, v28
	v_mul_f16_e32 v28, 0xb836, v57
	v_add_f16_e32 v17, v17, v29
	v_fma_f16 v29, v56, s11, v28
	v_add_f16_e32 v17, v17, v30
	v_add_f16_e32 v23, v23, v29
	s_movk_i32 s14, 0x3722
	v_mul_f16_e32 v29, 0xbb29, v55
	v_add_f16_e32 v17, v17, v33
	v_fma_f16 v30, v54, s14, v29
	v_add_f16_e32 v17, v32, v17
	v_add_f16_e32 v19, v30, v19
	v_mul_f16_e32 v30, 0x3964, v55
	v_add_f16_e32 v21, v31, v17
	v_fma_f16 v31, v54, s13, v30
	v_add_f16_e32 v23, v31, v23
	v_mul_f16_e32 v31, 0xb1e1, v53
	v_fma_f16 v22, v60, s0, -v22
	v_fma_f16 v32, v52, s0, v31
	v_add_f16_e32 v22, v0, v22
	v_fma_f16 v26, v58, s12, -v26
	v_add_f16_e32 v19, v32, v19
	v_mul_f16_e32 v32, 0xba62, v53
	s_mov_b32 s15, 0xb8d2
	v_add_f16_e32 v22, v22, v26
	v_fma_f16 v28, v56, s11, -v28
	v_fma_f16 v33, v52, s15, v32
	v_add_f16_e32 v22, v22, v28
	v_fma_f16 v30, v54, s13, -v30
	v_add_f16_e32 v23, v33, v23
	s_movk_i32 s0, 0x2de8
	v_mul_f16_e32 v33, 0x3bf7, v51
	v_pack_b32_f16 v71, v52, v52
	v_pack_b32_f16 v74, v51, v51
	v_add_f16_e32 v22, v30, v22
	v_mul_f16_e32 v30, 0xbbdd, v52
	v_fma_f16 v32, v52, s15, -v32
	v_fma_f16 v52, v50, s0, v33
	v_mul_f16_e32 v51, 0x3b29, v51
	v_pack_b32_f16 v73, v50, v50
	v_add_f16_e32 v22, v32, v22
	v_mul_f16_e32 v32, 0x2de8, v50
	v_add_f16_e32 v19, v52, v19
	v_fma_f16 v52, v50, s14, v51
	v_fma_f16 v50, v50, s14, -v51
	v_mul_f16_e32 v51, 0xb5c8, v49
	v_pack_b32_f16 v76, v49, v49
	v_add_f16_e32 v23, v52, v23
	v_fma_f16 v52, v2, s12, v51
	v_mul_f16_e32 v49, 0xbbb2, v49
	v_pack_b32_f16 v63, v61, v61
	v_pack_b32_f16 v75, v2, v2
	v_add_f16_e32 v22, v50, v22
	v_mul_f16_e32 v50, 0x3b76, v2
	v_add_f16_e32 v19, v52, v19
	v_fma_f16 v52, v2, s1, v49
	v_fma_f16 v2, v2, s1, -v49
	s_mov_b32 s19, 0xb964b5c8
	v_pack_b32_f16 v62, v60, v60
	v_add_f16_e32 v22, v2, v22
	s_mov_b32 s18, 0x39e93b76
	v_pk_mul_f16 v2, v63, s19
	v_pack_b32_f16 v66, v59, v59
	v_fma_f16 v49, v62, s12, -v2
	v_pk_fma_f16 v2, v62, s18, v2
	s_mov_b32 s18, 0xbbf7b964
	v_perm_b32 v64, v0, v0, s10
	v_pack_b32_f16 v65, v58, v58
	v_add_f16_e32 v0, v0, v49
	s_mov_b32 s12, 0x2de839e9
	v_pk_mul_f16 v49, v66, s18
	v_pack_b32_f16 v68, v57, v57
	v_add_f16_e32 v23, v52, v23
	v_pk_add_f16 v2, v64, v2
	v_fma_f16 v52, v65, s13, -v49
	v_pk_fma_f16 v49, v65, s12, v49
	s_mov_b32 s13, 0xba62bb29
	v_pack_b32_f16 v67, v56, v56
	v_pk_add_f16 v2, v2, v49
	s_mov_b32 s12, 0xb8d23722
	v_pk_mul_f16 v49, v68, s13
	v_pack_b32_f16 v70, v55, v55
	v_add_f16_e32 v0, v0, v52
	v_fma_f16 v52, v67, s14, -v49
	v_pk_fma_f16 v49, v67, s12, v49
	s_mov_b32 s13, 0xb1e1bbf7
	v_pack_b32_f16 v69, v54, v54
	v_pk_add_f16 v2, v2, v49
	s_mov_b32 s12, 0xbbdd2de8
	v_pk_mul_f16 v49, v70, s13
	v_pack_b32_f16 v72, v53, v53
	v_add_f16_e32 v0, v0, v52
	v_fma_f16 v52, v69, s0, -v49
	v_pk_fma_f16 v49, v69, s12, v49
	s_mov_b32 s13, 0x3836bbb2
	v_pk_add_f16 v2, v49, v2
	s_mov_b32 s12, 0xbacdb461
	v_pk_mul_f16 v49, v72, s13
	v_add_f16_e32 v0, v52, v0
	v_fma_f16 v52, v71, s1, -v49
	v_pk_fma_f16 v49, v71, s12, v49
	s_mov_b32 s12, 0x3bb2ba62
	v_pk_add_f16 v2, v49, v2
	s_mov_b32 s1, 0xb461b8d2
	v_pk_mul_f16 v49, v74, s12
	v_add_f16_e32 v0, v52, v0
	v_fma_f16 v52, v73, s15, -v49
	v_pk_fma_f16 v49, v73, s1, v49
	s_mov_b32 s12, 0x3b29b836
	v_pk_add_f16 v2, v49, v2
	s_mov_b32 s1, 0x3722bacd
	v_pk_mul_f16 v49, v76, s12
	v_pack_b32_f16 v77, v1, v1
	v_pack_b32_f16 v78, v15, v15
	v_add_f16_e32 v0, v52, v0
	v_fma_f16 v52, v75, s11, -v49
	v_pk_fma_f16 v49, v75, s1, v49
	s_mov_b32 s1, 0x3b76bbdd
	s_mov_b32 s11, 0x35c8b1e1
	v_add_f16_e32 v0, v52, v0
	v_pk_add_f16 v2, v49, v2
	v_pk_mul_f16 v49, v77, s1
	v_pk_mul_f16 v52, v78, s11
	s_mov_b32 s11, 0xbbf7bb29
	v_pk_fma_f16 v53, v77, s1, v52
	v_sub_f16_e32 v49, v49, v52
	s_mov_b32 s1, 0x2de83722
	v_pk_mul_f16 v52, v63, s11
	s_mov_b32 s11, 0xb1e1ba62
	v_add_f16_e32 v49, v49, v0
	v_pk_add_f16 v0, v53, v2
	v_pk_mul_f16 v2, v62, s1
	v_pk_fma_f16 v53, v62, s1, v52
	s_mov_b32 s1, 0xbbddb8d2
	v_pk_mul_f16 v55, v66, s11
	s_mov_b32 s11, 0x3bb231e1
	v_mul_f16_e32 v26, 0x39e9, v56
	v_mul_f16_e32 v28, 0x3722, v54
	v_pk_add_f16 v53, v64, v53
	v_pk_mul_f16 v54, v65, s1
	v_pk_fma_f16 v56, v65, s1, v55
	s_mov_b32 s1, 0xb461bbdd
	v_pk_mul_f16 v57, v68, s11
	s_mov_b32 s11, 0x35c83bb2
	v_mul_f16_e32 v24, 0xbacd, v58
	v_pk_add_f16 v53, v53, v56
	v_pk_mul_f16 v56, v67, s1
	v_pk_fma_f16 v58, v67, s1, v57
	s_mov_b32 s1, 0x3b76b461
	v_pk_mul_f16 v59, v70, s11
	s_mov_b32 s11, 0xbb293964
	v_mul_f16_e32 v17, 0xb461, v60
	v_pk_add_f16 v53, v53, v58
	v_pk_mul_f16 v58, v69, s1
	v_pk_fma_f16 v60, v69, s1, v59
	s_mov_b32 s1, 0x372239e9
	v_pk_mul_f16 v61, v72, s11
	s_mov_b32 s11, 0xb836b5c8
	v_pk_add_f16 v53, v60, v53
	v_pk_mul_f16 v60, v71, s1
	v_pk_fma_f16 v79, v71, s1, v61
	s_mov_b32 s1, 0xbacd3b76
	v_pk_mul_f16 v80, v74, s11
	s_mov_b32 s11, 0x3a62bbf7
	v_pk_add_f16 v53, v79, v53
	v_pk_mul_f16 v79, v73, s1
	v_pk_fma_f16 v81, v73, s1, v80
	s_mov_b32 s1, 0xb8d22de8
	v_pk_mul_f16 v82, v76, s11
	s_mov_b32 s11, 0x3964b836
	v_pk_add_f16 v53, v81, v53
	v_pk_mul_f16 v81, v75, s1
	v_pk_fma_f16 v83, v75, s1, v82
	s_mov_b32 s1, 0x39e9bacd
	v_pk_mul_f16 v84, v78, s11
	v_pk_add_f16 v53, v83, v53
	v_pk_mul_f16 v83, v77, s1
	v_pk_fma_f16 v85, v77, s1, v84
	s_mov_b32 s1, 0xffff
	v_bfi_b32 v2, s1, v17, v2
	v_bfi_b32 v17, s1, v18, v52
	v_pk_add_f16 v2, v2, v17 neg_lo:[0,1] neg_hi:[0,1]
	v_bfi_b32 v17, s1, v24, v54
	v_bfi_b32 v18, s1, v25, v55
	v_pk_add_f16 v2, v64, v2
	v_pk_add_f16 v17, v17, v18 neg_lo:[0,1] neg_hi:[0,1]
	v_bfi_b32 v18, s1, v27, v57
	v_pk_add_f16 v2, v2, v17
	v_bfi_b32 v17, s1, v26, v56
	v_pk_add_f16 v17, v17, v18 neg_lo:[0,1] neg_hi:[0,1]
	v_bfi_b32 v18, s1, v29, v59
	v_pk_add_f16 v2, v2, v17
	v_bfi_b32 v17, s1, v28, v58
	;; [unrolled: 4-line block ×5, first 2 shown]
	v_pk_add_f16 v53, v85, v53
	v_mul_f16_e32 v85, 0xb8d2, v1
	v_mul_f16_e32 v86, 0xba62, v15
	v_pk_add_f16 v17, v17, v18 neg_lo:[0,1] neg_hi:[0,1]
	v_bfi_b32 v18, s1, v86, v84
	v_pk_add_f16 v2, v17, v2
	v_bfi_b32 v17, s1, v85, v83
	v_pk_add_f16 v17, v17, v18 neg_lo:[0,1] neg_hi:[0,1]
	s_mov_b32 s11, 0xb836ba62
	v_pk_add_f16 v2, v17, v2
	s_mov_b32 s1, 0xbacdb8d2
	v_pk_mul_f16 v17, v63, s11
	s_mov_b32 s12, 0x3b293bb2
	v_fma_f16 v87, v1, s15, v86
	v_pk_fma_f16 v18, v62, s1, v17
	s_mov_b32 s11, 0x3722b461
	v_pk_mul_f16 v24, v66, s12
	s_mov_b32 s13, 0xbbf7b5c8
	v_add_f16_e32 v87, v87, v19
	v_pk_add_f16 v18, v64, v18
	v_pk_fma_f16 v19, v65, s11, v24
	s_mov_b32 s12, 0x2de83b76
	v_pk_mul_f16 v25, v68, s13
	s_mov_b32 s14, 0x3a62b836
	v_pk_add_f16 v18, v18, v19
	v_pk_fma_f16 v19, v67, s12, v25
	s_mov_b32 s13, 0xb8d2bacd
	v_pk_mul_f16 v26, v70, s14
	s_mov_b32 s15, 0xb5c83bf7
	;; [unrolled: 5-line block ×5, first 2 shown]
	v_pk_add_f16 v18, v19, v18
	v_pk_fma_f16 v19, v75, s18, v29
	s_mov_b32 s19, 0xb4613722
	v_pk_mul_f16 v30, v78, s20
	v_pk_add_f16 v18, v19, v18
	v_pk_fma_f16 v19, v77, s19, v30
	v_pk_fma_f16 v17, v62, s1, v17 neg_lo:[0,0,1] neg_hi:[0,0,1]
	v_pk_add_f16 v19, v19, v18
	v_pk_add_f16 v17, v64, v17
	v_pk_fma_f16 v18, v65, s11, v24 neg_lo:[0,0,1] neg_hi:[0,0,1]
	v_mul_f16_e32 v15, 0x3bf7, v15
	v_pk_add_f16 v17, v17, v18
	v_pk_fma_f16 v18, v67, s12, v25 neg_lo:[0,0,1] neg_hi:[0,0,1]
	s_nop 0
	v_pk_add_f16 v17, v17, v18
	v_pk_fma_f16 v18, v69, s13, v26 neg_lo:[0,0,1] neg_hi:[0,0,1]
	s_nop 0
	;; [unrolled: 3-line block ×6, first 2 shown]
	v_pk_add_f16 v24, v18, v17
	v_fma_f16 v17, v1, s0, v15
	v_fma_f16 v1, v1, s0, -v15
	v_add_f16_e32 v23, v17, v23
	v_add_f16_e32 v1, v1, v22
	v_lshlrev_b32_e32 v15, 5, v10
	v_add3_u32 v15, v16, v15, v8
	v_alignbit_b32 v18, v87, v53, 16
	v_alignbit_b32 v17, v53, v0, 16
	v_pack_b32_f16 v16, v21, v0
	v_pack_b32_f16 v0, v23, v1
	v_alignbit_b32 v1, v24, v24, 16
	ds_write_b128 v15, v[16:19]
	ds_write_b128 v15, v[0:3] offset:16
	ds_write_b16 v15, v49 offset:32
.LBB0_14:
	s_or_b64 exec, exec, s[4:5]
	v_add_u32_e32 v2, 0x55, v10
	s_movk_i32 s0, 0xf1
	v_mul_lo_u16_sdwa v17, v2, s0 dst_sel:DWORD dst_unused:UNUSED_PAD src0_sel:BYTE_0 src1_sel:DWORD
	v_lshrrev_b16_e32 v27, 12, v17
	v_add_u32_e32 v16, 0xaa, v10
	v_mul_lo_u16_e32 v17, 17, v27
	v_sub_u16_e32 v28, v2, v17
	v_mul_lo_u16_sdwa v17, v16, s0 dst_sel:DWORD dst_unused:UNUSED_PAD src0_sel:BYTE_0 src1_sel:DWORD
	v_lshrrev_b16_e32 v29, 12, v17
	v_add_u32_e32 v0, 0xff, v10
	v_mul_lo_u16_sdwa v1, v10, s0 dst_sel:DWORD dst_unused:UNUSED_PAD src0_sel:BYTE_0 src1_sel:DWORD
	v_mul_lo_u16_e32 v17, 17, v29
	s_mov_b32 s0, 0xf0f1
	v_sub_u16_e32 v30, v16, v17
	v_mul_u32_u24_sdwa v17, v0, s0 dst_sel:DWORD dst_unused:UNUSED_PAD src0_sel:WORD_0 src1_sel:DWORD
	v_lshrrev_b32_e32 v31, 20, v17
	v_mul_lo_u16_e32 v17, 17, v31
	v_sub_u16_e32 v32, v0, v17
	v_mul_u32_u24_sdwa v0, v48, s0 dst_sel:DWORD dst_unused:UNUSED_PAD src0_sel:WORD_0 src1_sel:DWORD
	v_lshrrev_b32_e32 v33, 20, v0
	v_mul_lo_u16_e32 v0, 17, v33
	v_sub_u16_e32 v63, v48, v0
	v_mul_u32_u24_sdwa v0, v47, s0 dst_sel:DWORD dst_unused:UNUSED_PAD src0_sel:WORD_0 src1_sel:DWORD
	v_lshrrev_b32_e32 v64, 20, v0
	v_add_u32_e32 v15, 0x1fe, v10
	v_mul_lo_u16_e32 v0, 17, v64
	v_lshrrev_b16_e32 v25, 12, v1
	v_sub_u16_e32 v65, v47, v0
	v_mul_u32_u24_sdwa v0, v15, s0 dst_sel:DWORD dst_unused:UNUSED_PAD src0_sel:WORD_0 src1_sel:DWORD
	v_mul_lo_u16_e32 v1, 17, v25
	v_lshrrev_b32_e32 v66, 20, v0
	v_sub_u16_e32 v26, v10, v1
	v_mov_b32_e32 v1, 2
	v_mul_lo_u16_e32 v0, 17, v66
	v_lshlrev_b32_sdwa v19, v1, v26 dst_sel:DWORD dst_unused:UNUSED_PAD src0_sel:DWORD src1_sel:BYTE_0
	v_sub_u16_e32 v67, v15, v0
	s_load_dwordx2 s[2:3], s[2:3], 0x0
	s_waitcnt lgkmcnt(0)
	s_barrier
	v_lshlrev_b32_sdwa v21, v1, v28 dst_sel:DWORD dst_unused:UNUSED_PAD src0_sel:DWORD src1_sel:BYTE_0
	v_lshlrev_b32_sdwa v1, v1, v30 dst_sel:DWORD dst_unused:UNUSED_PAD src0_sel:DWORD src1_sel:BYTE_0
	v_lshlrev_b32_e32 v22, 2, v32
	v_lshlrev_b32_e32 v24, 2, v63
	;; [unrolled: 1-line block ×4, first 2 shown]
	global_load_dword v51, v19, s[8:9]
	global_load_dword v49, v21, s[8:9]
	;; [unrolled: 1-line block ×7, first 2 shown]
	ds_read_u16 v58, v12 offset:1190
	ds_read_u16 v57, v12 offset:1360
	;; [unrolled: 1-line block ×3, first 2 shown]
	ds_read_u16 v54, v9
	ds_read_u16 v53, v12 offset:170
	ds_read_u16 v52, v12 offset:340
	;; [unrolled: 1-line block ×3, first 2 shown]
	ds_read_u16 v22, v14
	ds_read_u16 v62, v12 offset:1700
	ds_read_u16 v60, v12 offset:1870
	;; [unrolled: 1-line block ×4, first 2 shown]
	ds_read_u16 v55, v13
	ds_read_u16 v61, v12 offset:2210
	s_movk_i32 s0, 0x44
	v_mad_u32_u24 v25, v25, s0, 0
	s_waitcnt lgkmcnt(0)
	s_barrier
	s_waitcnt vmcnt(6)
	v_mul_f16_sdwa v1, v58, v51 dst_sel:DWORD dst_unused:UNUSED_PAD src0_sel:DWORD src1_sel:WORD_1
	s_waitcnt vmcnt(5)
	v_mul_f16_sdwa v19, v57, v49 dst_sel:DWORD dst_unused:UNUSED_PAD src0_sel:DWORD src1_sel:WORD_1
	;; [unrolled: 2-line block ×4, first 2 shown]
	v_fma_f16 v24, v37, v23, -v24
	v_sub_f16_e32 v74, v43, v24
	v_fma_f16 v19, v20, v49, -v19
	v_fma_f16 v77, v43, 2.0, -v74
	v_mov_b32_e32 v43, 1
	v_fma_f16 v21, v34, v47, -v21
	v_sub_f16_e32 v72, v41, v19
	v_lshlrev_b32_sdwa v26, v43, v26 dst_sel:DWORD dst_unused:UNUSED_PAD src0_sel:DWORD src1_sel:BYTE_0
	s_waitcnt vmcnt(1)
	v_mul_f16_sdwa v69, v59, v17 dst_sel:DWORD dst_unused:UNUSED_PAD src0_sel:DWORD src1_sel:WORD_1
	v_sub_f16_e32 v73, v42, v21
	v_fma_f16 v75, v41, 2.0, -v72
	v_add3_u32 v41, v25, v26, v8
	v_mad_u32_u24 v25, v27, s0, 0
	v_lshlrev_b32_sdwa v26, v43, v28 dst_sel:DWORD dst_unused:UNUSED_PAD src0_sel:DWORD src1_sel:BYTE_0
	v_fma_f16 v69, v35, v17, -v69
	v_fma_f16 v76, v42, 2.0, -v73
	v_add3_u32 v42, v25, v26, v8
	v_mad_u32_u24 v25, v29, s0, 0
	v_lshlrev_b32_sdwa v26, v43, v30 dst_sel:DWORD dst_unused:UNUSED_PAD src0_sel:DWORD src1_sel:BYTE_0
	v_fma_f16 v1, v39, v51, -v1
	v_sub_f16_e32 v19, v44, v69
	v_add3_u32 v43, v25, v26, v8
	v_mad_u32_u24 v25, v31, s0, 0
	v_lshlrev_b32_e32 v26, 1, v32
	v_sub_f16_e32 v71, v40, v1
	v_fma_f16 v1, v44, 2.0, -v19
	v_add3_u32 v44, v25, v26, v8
	v_perm_b32 v25, v64, v33, s10
	s_waitcnt vmcnt(0)
	v_mul_f16_sdwa v70, v61, v0 dst_sel:DWORD dst_unused:UNUSED_PAD src0_sel:DWORD src1_sel:WORD_1
	v_pk_mul_lo_u16 v25, v25, s0 op_sel_hi:[1,0]
	v_mul_f16_sdwa v68, v60, v18 dst_sel:DWORD dst_unused:UNUSED_PAD src0_sel:DWORD src1_sel:WORD_1
	v_fma_f16 v70, v38, v0, -v70
	v_and_b32_e32 v26, 0xfffc, v25
	v_fma_f16 v68, v36, v18, -v68
	v_sub_f16_e32 v21, v45, v70
	v_add_u32_e32 v26, 0, v26
	v_lshlrev_b32_e32 v27, 1, v63
	v_sub_f16_e32 v68, v46, v68
	v_fma_f16 v24, v45, 2.0, -v21
	v_add3_u32 v45, v26, v27, v8
	v_mov_b32_e32 v26, 0
	v_fma_f16 v40, v40, 2.0, -v71
	v_fma_f16 v46, v46, 2.0, -v68
	v_add_u32_sdwa v25, v26, v25 dst_sel:DWORD dst_unused:UNUSED_PAD src0_sel:DWORD src1_sel:WORD_1
	v_lshlrev_b32_e32 v26, 1, v65
	ds_write_b16 v41, v40
	ds_write_b16 v41, v71 offset:34
	ds_write_b16 v42, v75
	ds_write_b16 v42, v72 offset:34
	;; [unrolled: 2-line block ×5, first 2 shown]
	v_add3_u32 v46, v25, v26, v8
	v_mad_u32_u24 v25, v66, s0, 0
	v_lshlrev_b32_e32 v26, 1, v67
	v_add3_u32 v63, v25, v26, v8
	ds_write_b16 v46, v1
	ds_write_b16 v46, v19 offset:34
	ds_write_b16 v63, v24
	ds_write_b16 v63, v21 offset:34
	s_waitcnt lgkmcnt(0)
	s_barrier
	ds_read_u16 v26, v9
	ds_read_u16 v27, v12 offset:1598
	ds_read_u16 v31, v12 offset:1428
	;; [unrolled: 1-line block ×9, first 2 shown]
	v_cmp_gt_u32_e64 s[0:1], s0, v10
	s_and_saveexec_b64 s[4:5], s[0:1]
	s_cbranch_execz .LBB0_16
; %bb.15:
	ds_read_u16 v1, v12 offset:340
	ds_read_u16 v19, v12 offset:816
	;; [unrolled: 1-line block ×5, first 2 shown]
.LBB0_16:
	s_or_b64 exec, exec, s[4:5]
	v_mul_f16_sdwa v39, v39, v51 dst_sel:DWORD dst_unused:UNUSED_PAD src0_sel:DWORD src1_sel:WORD_1
	v_mul_f16_sdwa v35, v35, v17 dst_sel:DWORD dst_unused:UNUSED_PAD src0_sel:DWORD src1_sel:WORD_1
	v_fma_f16 v39, v58, v51, v39
	v_mul_f16_sdwa v20, v20, v49 dst_sel:DWORD dst_unused:UNUSED_PAD src0_sel:DWORD src1_sel:WORD_1
	v_mul_f16_sdwa v34, v34, v47 dst_sel:DWORD dst_unused:UNUSED_PAD src0_sel:DWORD src1_sel:WORD_1
	;; [unrolled: 1-line block ×4, first 2 shown]
	v_fma_f16 v17, v59, v17, v35
	v_mul_f16_sdwa v35, v38, v0 dst_sel:DWORD dst_unused:UNUSED_PAD src0_sel:DWORD src1_sel:WORD_1
	v_fma_f16 v20, v57, v49, v20
	v_fma_f16 v34, v56, v47, v34
	;; [unrolled: 1-line block ×5, first 2 shown]
	v_sub_f16_e32 v36, v54, v39
	v_fma_f16 v38, v54, 2.0, -v36
	v_sub_f16_e32 v39, v53, v20
	v_sub_f16_e32 v49, v52, v34
	;; [unrolled: 1-line block ×6, first 2 shown]
	v_fma_f16 v47, v53, 2.0, -v39
	v_fma_f16 v51, v52, 2.0, -v49
	;; [unrolled: 1-line block ×6, first 2 shown]
	s_waitcnt lgkmcnt(0)
	s_barrier
	ds_write_b16 v41, v38
	ds_write_b16 v41, v36 offset:34
	ds_write_b16 v42, v47
	ds_write_b16 v42, v39 offset:34
	;; [unrolled: 2-line block ×7, first 2 shown]
	s_waitcnt lgkmcnt(0)
	s_barrier
	ds_read_u16 v18, v9
	ds_read_u16 v35, v12 offset:1598
	ds_read_u16 v39, v12 offset:1428
	;; [unrolled: 1-line block ×9, first 2 shown]
	s_and_saveexec_b64 s[4:5], s[0:1]
	s_cbranch_execz .LBB0_18
; %bb.17:
	ds_read_u16 v0, v12 offset:340
	ds_read_u16 v20, v12 offset:816
	;; [unrolled: 1-line block ×5, first 2 shown]
.LBB0_18:
	s_or_b64 exec, exec, s[4:5]
	s_movk_i32 s4, 0xf1
	v_mul_lo_u16_sdwa v22, v10, s4 dst_sel:DWORD dst_unused:UNUSED_PAD src0_sel:BYTE_0 src1_sel:DWORD
	v_lshrrev_b16_e32 v62, 13, v22
	v_mul_lo_u16_e32 v22, 34, v62
	v_sub_u16_e32 v63, v10, v22
	v_mov_b32_e32 v44, 4
	v_lshlrev_b32_sdwa v22, v44, v63 dst_sel:DWORD dst_unused:UNUSED_PAD src0_sel:DWORD src1_sel:BYTE_0
	global_load_dwordx4 v[50:53], v22, s[8:9] offset:68
	v_mul_lo_u16_sdwa v22, v2, s4 dst_sel:DWORD dst_unused:UNUSED_PAD src0_sel:BYTE_0 src1_sel:DWORD
	v_lshrrev_b16_e32 v64, 13, v22
	v_mul_lo_u16_e32 v22, 34, v64
	v_sub_u16_e32 v65, v2, v22
	v_lshlrev_b32_sdwa v22, v44, v65 dst_sel:DWORD dst_unused:UNUSED_PAD src0_sel:DWORD src1_sel:BYTE_0
	global_load_dwordx4 v[54:57], v22, s[8:9] offset:68
	v_mul_lo_u16_sdwa v22, v16, s4 dst_sel:DWORD dst_unused:UNUSED_PAD src0_sel:BYTE_0 src1_sel:DWORD
	v_lshrrev_b16_e32 v22, 13, v22
	v_mul_lo_u16_e32 v23, 34, v22
	v_sub_u16_e32 v23, v16, v23
	v_lshlrev_b32_sdwa v44, v44, v23 dst_sel:DWORD dst_unused:UNUSED_PAD src0_sel:DWORD src1_sel:BYTE_0
	global_load_dwordx4 v[58:61], v44, s[8:9] offset:68
	s_movk_i32 s11, 0x3b9c
	s_mov_b32 s13, 0xbb9c
	s_movk_i32 s10, 0x38b4
	s_mov_b32 s14, 0xb8b4
	s_movk_i32 s12, 0x34f2
	s_movk_i32 s15, 0x154
	s_waitcnt lgkmcnt(0)
	s_barrier
	s_waitcnt vmcnt(2)
	v_mul_f16_sdwa v44, v42, v50 dst_sel:DWORD dst_unused:UNUSED_PAD src0_sel:DWORD src1_sel:WORD_1
	v_mul_f16_sdwa v48, v43, v51 dst_sel:DWORD dst_unused:UNUSED_PAD src0_sel:DWORD src1_sel:WORD_1
	;; [unrolled: 1-line block ×7, first 2 shown]
	s_waitcnt vmcnt(1)
	v_mul_f16_sdwa v76, v38, v57 dst_sel:DWORD dst_unused:UNUSED_PAD src0_sel:DWORD src1_sel:WORD_1
	v_mul_f16_sdwa v77, v29, v57 dst_sel:DWORD dst_unused:UNUSED_PAD src0_sel:DWORD src1_sel:WORD_1
	v_fma_f16 v47, v40, v50, -v44
	v_fma_f16 v48, v32, v51, -v48
	v_fma_f16 v44, v43, v51, v49
	s_waitcnt vmcnt(0)
	v_mul_f16_sdwa v83, v21, v60 dst_sel:DWORD dst_unused:UNUSED_PAD src0_sel:DWORD src1_sel:WORD_1
	v_mul_f16_sdwa v84, v3, v61 dst_sel:DWORD dst_unused:UNUSED_PAD src0_sel:DWORD src1_sel:WORD_1
	v_mul_f16_sdwa v85, v11, v61 dst_sel:DWORD dst_unused:UNUSED_PAD src0_sel:DWORD src1_sel:WORD_1
	v_fma_f16 v49, v31, v52, -v66
	v_mul_f16_sdwa v67, v31, v52 dst_sel:DWORD dst_unused:UNUSED_PAD src0_sel:DWORD src1_sel:WORD_1
	v_mul_f16_sdwa v70, v41, v54 dst_sel:DWORD dst_unused:UNUSED_PAD src0_sel:DWORD src1_sel:WORD_1
	;; [unrolled: 1-line block ×11, first 2 shown]
	v_fma_f16 v42, v42, v50, v45
	v_fma_f16 v51, v33, v53, -v68
	v_fma_f16 v46, v46, v53, v69
	v_fma_f16 v43, v29, v57, -v76
	v_fma_f16 v29, v38, v57, v77
	v_fma_f16 v33, v34, v60, v83
	v_fma_f16 v38, v11, v61, -v84
	v_fma_f16 v34, v3, v61, v85
	v_add_f16_e32 v3, v26, v47
	v_add_f16_e32 v11, v48, v49
	v_mul_f16_sdwa v79, v19, v58 dst_sel:DWORD dst_unused:UNUSED_PAD src0_sel:DWORD src1_sel:WORD_1
	v_fma_f16 v45, v39, v52, v67
	v_fma_f16 v39, v30, v54, -v70
	v_fma_f16 v30, v41, v54, v71
	v_fma_f16 v40, v28, v55, -v72
	;; [unrolled: 2-line block ×4, first 2 shown]
	v_fma_f16 v35, v24, v59, -v80
	v_fma_f16 v32, v37, v59, v81
	v_fma_f16 v37, v21, v60, -v82
	v_sub_f16_e32 v19, v42, v46
	v_sub_f16_e32 v21, v47, v48
	;; [unrolled: 1-line block ×3, first 2 shown]
	v_add_f16_e32 v50, v47, v51
	v_add_f16_e32 v3, v3, v48
	v_fma_f16 v11, v11, -0.5, v26
	v_fma_f16 v31, v20, v58, v79
	v_sub_f16_e32 v20, v44, v45
	v_add_f16_e32 v21, v21, v24
	v_fma_f16 v24, v50, -0.5, v26
	v_add_f16_e32 v3, v3, v49
	v_fma_f16 v26, v19, s11, v11
	v_fma_f16 v11, v19, s13, v11
	;; [unrolled: 1-line block ×3, first 2 shown]
	v_add_f16_e32 v52, v3, v51
	v_fma_f16 v3, v20, s10, v26
	v_fma_f16 v11, v20, s14, v11
	;; [unrolled: 1-line block ×5, first 2 shown]
	v_sub_f16_e32 v21, v48, v47
	v_sub_f16_e32 v50, v49, v51
	v_add_f16_e32 v21, v21, v50
	v_fma_f16 v53, v21, s12, v3
	v_fma_f16 v3, v20, s11, v24
	;; [unrolled: 1-line block ×4, first 2 shown]
	v_add_f16_e32 v3, v25, v39
	v_add_f16_e32 v3, v3, v40
	;; [unrolled: 1-line block ×5, first 2 shown]
	v_fma_f16 v3, v3, -0.5, v25
	v_sub_f16_e32 v21, v30, v29
	v_fma_f16 v24, v21, s11, v3
	v_sub_f16_e32 v50, v28, v27
	v_sub_f16_e32 v54, v39, v40
	;; [unrolled: 1-line block ×3, first 2 shown]
	v_fma_f16 v3, v21, s13, v3
	v_fma_f16 v24, v50, s10, v24
	v_add_f16_e32 v54, v54, v55
	v_fma_f16 v3, v50, s14, v3
	v_fma_f16 v24, v54, s12, v24
	v_fma_f16 v54, v54, s12, v3
	v_add_f16_e32 v3, v39, v43
	v_fma_f16 v3, v3, -0.5, v25
	v_fma_f16 v25, v50, s13, v3
	v_sub_f16_e32 v55, v40, v39
	v_sub_f16_e32 v56, v41, v43
	v_fma_f16 v3, v50, s11, v3
	v_add_f16_e32 v55, v55, v56
	v_fma_f16 v3, v21, s14, v3
	v_fma_f16 v25, v21, s10, v25
	;; [unrolled: 1-line block ×3, first 2 shown]
	v_mov_b32_e32 v3, 1
	v_fma_f16 v25, v55, s12, v25
	v_mad_u32_u24 v50, v62, s15, 0
	v_lshlrev_b32_sdwa v55, v3, v63 dst_sel:DWORD dst_unused:UNUSED_PAD src0_sel:DWORD src1_sel:BYTE_0
	v_add3_u32 v50, v50, v55, v8
	ds_write_b16 v50, v52
	ds_write_b16 v50, v26 offset:68
	ds_write_b16 v50, v53 offset:136
	;; [unrolled: 1-line block ×4, first 2 shown]
	v_mad_u32_u24 v11, v64, s15, 0
	v_lshlrev_b32_sdwa v19, v3, v65 dst_sel:DWORD dst_unused:UNUSED_PAD src0_sel:DWORD src1_sel:BYTE_0
	v_add3_u32 v52, v11, v19, v8
	ds_write_b16 v52, v20
	ds_write_b16 v52, v24 offset:68
	ds_write_b16 v52, v25 offset:136
	;; [unrolled: 1-line block ×4, first 2 shown]
	s_and_saveexec_b64 s[4:5], s[0:1]
	s_cbranch_execz .LBB0_20
; %bb.19:
	v_sub_f16_e32 v11, v35, v36
	v_sub_f16_e32 v19, v37, v38
	v_add_f16_e32 v11, v11, v19
	v_add_f16_e32 v19, v36, v38
	v_fma_f16 v19, v19, -0.5, v1
	v_sub_f16_e32 v20, v32, v33
	v_fma_f16 v21, v20, s11, v19
	v_sub_f16_e32 v24, v31, v34
	v_fma_f16 v19, v20, s13, v19
	v_fma_f16 v21, v24, s14, v21
	;; [unrolled: 1-line block ×5, first 2 shown]
	v_sub_f16_e32 v19, v36, v35
	v_sub_f16_e32 v25, v38, v37
	v_add_f16_e32 v19, v19, v25
	v_add_f16_e32 v25, v35, v37
	v_fma_f16 v25, v25, -0.5, v1
	v_fma_f16 v26, v24, s13, v25
	v_fma_f16 v24, v24, s11, v25
	v_add_f16_e32 v1, v1, v36
	v_fma_f16 v26, v20, s14, v26
	v_fma_f16 v20, v20, s10, v24
	v_add_f16_e32 v1, v1, v35
	;; [unrolled: 3-line block ×3, first 2 shown]
	v_mad_u32_u24 v20, v22, s15, 0
	v_lshlrev_b32_sdwa v3, v3, v23 dst_sel:DWORD dst_unused:UNUSED_PAD src0_sel:DWORD src1_sel:BYTE_0
	v_add_f16_e32 v1, v1, v38
	v_add3_u32 v3, v20, v3, v8
	ds_write_b16 v3, v1
	ds_write_b16 v3, v19 offset:68
	ds_write_b16 v3, v11 offset:136
	;; [unrolled: 1-line block ×4, first 2 shown]
.LBB0_20:
	s_or_b64 exec, exec, s[4:5]
	v_add_f16_e32 v3, v44, v45
	v_fma_f16 v3, v3, -0.5, v18
	v_sub_f16_e32 v11, v47, v51
	v_fma_f16 v19, v11, s13, v3
	v_sub_f16_e32 v20, v48, v49
	v_sub_f16_e32 v21, v42, v44
	;; [unrolled: 1-line block ×3, first 2 shown]
	v_fma_f16 v3, v11, s11, v3
	v_add_f16_e32 v21, v21, v24
	v_fma_f16 v3, v20, s10, v3
	v_fma_f16 v48, v21, s12, v3
	v_add_f16_e32 v3, v42, v46
	v_fma_f16 v19, v20, s14, v19
	v_fma_f16 v3, v3, -0.5, v18
	v_add_f16_e32 v1, v18, v42
	v_fma_f16 v47, v21, s12, v19
	v_fma_f16 v18, v20, s11, v3
	v_sub_f16_e32 v19, v44, v42
	v_sub_f16_e32 v21, v45, v46
	v_fma_f16 v3, v20, s13, v3
	v_add_f16_e32 v19, v19, v21
	v_fma_f16 v3, v11, s10, v3
	v_add_f16_e32 v1, v1, v44
	;; [unrolled: 2-line block ×3, first 2 shown]
	v_add_f16_e32 v3, v3, v28
	v_add_f16_e32 v3, v3, v27
	;; [unrolled: 1-line block ×5, first 2 shown]
	v_fma_f16 v18, v11, s14, v18
	v_fma_f16 v3, v3, -0.5, v17
	v_sub_f16_e32 v11, v39, v43
	v_fma_f16 v42, v19, s12, v18
	v_fma_f16 v18, v11, s13, v3
	v_sub_f16_e32 v19, v40, v41
	v_sub_f16_e32 v20, v30, v28
	;; [unrolled: 1-line block ×3, first 2 shown]
	v_fma_f16 v3, v11, s11, v3
	v_add_f16_e32 v20, v20, v21
	v_fma_f16 v3, v19, s10, v3
	v_fma_f16 v40, v20, s12, v3
	v_add_f16_e32 v3, v30, v29
	v_fma_f16 v18, v19, s14, v18
	v_fma_f16 v3, v3, -0.5, v17
	v_fma_f16 v39, v20, s12, v18
	v_fma_f16 v17, v19, s11, v3
	v_sub_f16_e32 v18, v28, v30
	v_sub_f16_e32 v20, v27, v29
	v_fma_f16 v3, v19, s13, v3
	v_fma_f16 v17, v11, s14, v17
	v_add_f16_e32 v18, v18, v20
	v_fma_f16 v3, v11, s10, v3
	v_fma_f16 v41, v18, s12, v17
	;; [unrolled: 1-line block ×3, first 2 shown]
	s_waitcnt lgkmcnt(0)
	s_barrier
	ds_read_u16 v3, v9
	ds_read_u16 v11, v12 offset:1700
	ds_read_u16 v25, v12 offset:1530
	;; [unrolled: 1-line block ×8, first 2 shown]
	ds_read_u16 v27, v14
	ds_read_u16 v17, v13
	ds_read_u16 v30, v12 offset:2210
	ds_read_u16 v21, v12 offset:2040
	;; [unrolled: 1-line block ×3, first 2 shown]
	v_add_f16_e32 v1, v1, v46
	s_waitcnt lgkmcnt(0)
	s_barrier
	ds_write_b16 v50, v1
	ds_write_b16 v50, v47 offset:68
	ds_write_b16 v50, v42 offset:136
	;; [unrolled: 1-line block ×4, first 2 shown]
	ds_write_b16 v52, v45
	ds_write_b16 v52, v39 offset:68
	ds_write_b16 v52, v41 offset:136
	;; [unrolled: 1-line block ×4, first 2 shown]
	s_and_saveexec_b64 s[4:5], s[0:1]
	s_cbranch_execz .LBB0_22
; %bb.21:
	v_add_f16_e32 v39, v32, v33
	v_fma_f16 v39, v39, -0.5, v0
	v_sub_f16_e32 v36, v36, v38
	s_mov_b32 s0, 0xbb9c
	v_fma_f16 v38, v36, s0, v39
	v_sub_f16_e32 v35, v35, v37
	s_mov_b32 s1, 0xb8b4
	v_fma_f16 v37, v35, s1, v38
	v_sub_f16_e32 v38, v31, v32
	v_sub_f16_e32 v40, v34, v33
	v_fma_f16 v39, v36, s11, v39
	s_movk_i32 s12, 0x38b4
	v_add_f16_e32 v38, v38, v40
	s_movk_i32 s10, 0x34f2
	v_fma_f16 v39, v35, s12, v39
	v_fma_f16 v37, v38, s10, v37
	;; [unrolled: 1-line block ×3, first 2 shown]
	v_add_f16_e32 v39, v31, v34
	v_add_f16_e32 v1, v0, v31
	v_fma_f16 v0, v39, -0.5, v0
	v_add_f16_e32 v1, v1, v32
	v_fma_f16 v39, v35, s11, v0
	v_sub_f16_e32 v31, v32, v31
	v_sub_f16_e32 v32, v33, v34
	v_fma_f16 v0, v35, s0, v0
	v_fma_f16 v39, v36, s1, v39
	v_add_f16_e32 v31, v31, v32
	v_fma_f16 v0, v36, s12, v0
	v_fma_f16 v32, v31, s10, v39
	;; [unrolled: 1-line block ×3, first 2 shown]
	s_movk_i32 s0, 0x154
	v_mov_b32_e32 v31, 1
	v_add_f16_e32 v1, v1, v33
	v_mad_u32_u24 v22, v22, s0, 0
	v_lshlrev_b32_sdwa v23, v31, v23 dst_sel:DWORD dst_unused:UNUSED_PAD src0_sel:DWORD src1_sel:BYTE_0
	v_add_f16_e32 v1, v1, v34
	v_add3_u32 v8, v22, v23, v8
	ds_write_b16 v8, v1
	ds_write_b16 v8, v37 offset:68
	ds_write_b16 v8, v32 offset:136
	;; [unrolled: 1-line block ×4, first 2 shown]
.LBB0_22:
	s_or_b64 exec, exec, s[4:5]
	s_waitcnt lgkmcnt(0)
	s_barrier
	s_and_saveexec_b64 s[0:1], vcc
	s_cbranch_execz .LBB0_24
; %bb.23:
	v_mul_u32_u24_e32 v0, 6, v2
	v_lshlrev_b32_e32 v0, 2, v0
	global_load_dwordx4 v[32:35], v0, s[8:9] offset:612
	global_load_dwordx2 v[22:23], v0, s[8:9] offset:628
	v_mul_lo_u32 v8, s3, v6
	v_mad_u64_u32 v[0:1], s[0:1], s2, v6, 0
	v_mul_u32_u24_e32 v6, 6, v10
	v_mul_lo_u32 v7, s2, v7
	v_lshlrev_b32_e32 v48, 2, v6
	ds_read_u16 v31, v12 offset:1530
	ds_read_u16 v36, v12 offset:1360
	;; [unrolled: 1-line block ×6, first 2 shown]
	ds_read_u16 v14, v14
	ds_read_u16 v41, v13
	ds_read_u16 v42, v12 offset:2210
	ds_read_u16 v43, v12 offset:2040
	;; [unrolled: 1-line block ×5, first 2 shown]
	ds_read_u16 v47, v9
	v_add3_u32 v1, v1, v7, v8
	global_load_dwordx4 v[6:9], v48, s[8:9] offset:612
	global_load_dwordx2 v[12:13], v48, s[8:9] offset:628
	s_movk_i32 s1, 0x3574
	s_mov_b32 s5, 0xb574
	s_movk_i32 s2, 0x3a52
	s_mov_b32 s3, 0xbcab
	s_movk_i32 s4, 0x3b00
	s_mov_b32 s8, 0xb9e0
	s_movk_i32 s9, 0x39e0
	s_movk_i32 s0, 0x370e
	v_lshl_add_u64 v[0:1], v[0:1], 2, s[6:7]
	v_lshl_add_u64 v[0:1], v[4:5], 2, v[0:1]
	s_waitcnt vmcnt(3) lgkmcnt(13)
	v_mul_f16_sdwa v50, v31, v35 dst_sel:DWORD dst_unused:UNUSED_PAD src0_sel:DWORD src1_sel:WORD_1
	s_waitcnt lgkmcnt(11)
	v_mul_f16_sdwa v51, v37, v34 dst_sel:DWORD dst_unused:UNUSED_PAD src0_sel:DWORD src1_sel:WORD_1
	s_waitcnt lgkmcnt(7)
	v_mul_f16_sdwa v52, v14, v33 dst_sel:DWORD dst_unused:UNUSED_PAD src0_sel:DWORD src1_sel:WORD_1
	s_waitcnt vmcnt(2) lgkmcnt(3)
	v_mul_f16_sdwa v53, v44, v22 dst_sel:DWORD dst_unused:UNUSED_PAD src0_sel:DWORD src1_sel:WORD_1
	v_mul_f16_sdwa v48, v39, v32 dst_sel:DWORD dst_unused:UNUSED_PAD src0_sel:DWORD src1_sel:WORD_1
	;; [unrolled: 1-line block ×9, first 2 shown]
	v_fma_f16 v25, v25, v35, -v50
	v_fma_f16 v26, v26, v34, -v51
	;; [unrolled: 1-line block ×6, first 2 shown]
	v_fma_f16 v23, v23, v42, v54
	v_fma_f16 v32, v32, v39, v55
	;; [unrolled: 1-line block ×6, first 2 shown]
	v_sub_f16_e32 v35, v25, v26
	v_sub_f16_e32 v37, v27, v29
	;; [unrolled: 1-line block ×3, first 2 shown]
	v_add_f16_e32 v39, v32, v23
	v_add_f16_e32 v44, v14, v22
	;; [unrolled: 1-line block ×7, first 2 shown]
	v_sub_f16_e32 v27, v33, v35
	v_sub_f16_e32 v29, v35, v37
	v_add_f16_e32 v49, v39, v44
	v_add_f16_e32 v52, v28, v26
	;; [unrolled: 1-line block ×3, first 2 shown]
	v_sub_f16_e32 v23, v32, v23
	v_sub_f16_e32 v31, v31, v34
	v_sub_f16_e32 v14, v14, v22
	v_sub_f16_e32 v33, v37, v33
	v_sub_f16_e32 v35, v39, v42
	v_sub_f16_e32 v48, v42, v44
	v_sub_f16_e32 v50, v28, v25
	v_sub_f16_e32 v51, v25, v26
	v_mul_f16_e32 v29, 0xb846, v29
	v_add_f16_e32 v42, v42, v49
	v_add_f16_e32 v25, v25, v52
	v_sub_f16_e32 v32, v23, v31
	v_sub_f16_e32 v22, v31, v14
	v_add_f16_e32 v31, v31, v14
	v_mul_f16_e32 v37, 0x3b00, v33
	v_sub_f16_e32 v14, v14, v23
	v_mul_f16_e32 v53, 0x3a52, v35
	v_mul_f16_e32 v48, 0x2b26, v48
	;; [unrolled: 1-line block ×4, first 2 shown]
	v_fma_f16 v52, v27, s1, v29
	s_waitcnt lgkmcnt(1)
	v_add_f16_e32 v46, v46, v42
	v_add_f16_e32 v24, v24, v25
	v_mul_f16_e32 v22, 0xb846, v22
	v_add_f16_e32 v31, v23, v31
	v_fma_f16 v27, v27, s5, -v37
	v_sub_f16_e32 v37, v44, v39
	v_sub_f16_e32 v26, v26, v28
	v_mul_f16_e32 v23, 0x3b00, v14
	v_fma_f16 v35, v35, s2, v48
	v_fma_f16 v50, v50, s2, v51
	;; [unrolled: 1-line block ×5, first 2 shown]
	v_fma_f16 v39, v37, s8, -v53
	v_fma_f16 v28, v26, s8, -v49
	;; [unrolled: 1-line block ×7, first 2 shown]
	v_fma_f16 v52, v30, s0, v52
	v_add_f16_e32 v35, v35, v42
	v_add_f16_e32 v50, v50, v25
	v_fma_f16 v34, v31, s0, v34
	v_fma_f16 v27, v30, s0, v27
	v_add_f16_e32 v39, v39, v42
	v_add_f16_e32 v28, v28, v25
	v_fma_f16 v23, v31, s0, v23
	v_add_f16_e32 v37, v37, v42
	v_fma_f16 v29, v30, s0, v29
	v_fma_f16 v14, v31, s0, v14
	v_add_f16_e32 v22, v22, v25
	s_waitcnt vmcnt(0)
	v_mul_f16_sdwa v48, v45, v12 dst_sel:DWORD dst_unused:UNUSED_PAD src0_sel:DWORD src1_sel:WORD_1
	v_add_f16_e32 v54, v52, v35
	v_sub_f16_e32 v55, v50, v34
	v_add_f16_e32 v44, v27, v39
	v_sub_f16_e32 v32, v28, v23
	v_sub_f16_e32 v30, v37, v29
	v_add_f16_e32 v25, v14, v22
	v_add_f16_e32 v26, v29, v37
	v_sub_f16_e32 v14, v22, v14
	v_sub_f16_e32 v22, v39, v27
	v_add_f16_e32 v23, v23, v28
	v_sub_f16_e32 v27, v35, v52
	v_add_f16_e32 v28, v34, v50
	v_mul_f16_sdwa v29, v40, v6 dst_sel:DWORD dst_unused:UNUSED_PAD src0_sel:DWORD src1_sel:WORD_1
	v_mul_f16_sdwa v31, v43, v13 dst_sel:DWORD dst_unused:UNUSED_PAD src0_sel:DWORD src1_sel:WORD_1
	;; [unrolled: 1-line block ×4, first 2 shown]
	v_fma_f16 v48, v11, v12, -v48
	v_mul_f16_sdwa v11, v11, v12 dst_sel:DWORD dst_unused:UNUSED_PAD src0_sel:DWORD src1_sel:WORD_1
	v_fma_f16 v29, v20, v6, -v29
	v_fma_f16 v31, v21, v13, -v31
	;; [unrolled: 1-line block ×4, first 2 shown]
	v_mul_f16_sdwa v42, v41, v7 dst_sel:DWORD dst_unused:UNUSED_PAD src0_sel:DWORD src1_sel:WORD_1
	v_mul_f16_sdwa v21, v21, v13 dst_sel:DWORD dst_unused:UNUSED_PAD src0_sel:DWORD src1_sel:WORD_1
	;; [unrolled: 1-line block ×5, first 2 shown]
	v_fma_f16 v11, v12, v45, v11
	v_mul_f16_sdwa v12, v17, v7 dst_sel:DWORD dst_unused:UNUSED_PAD src0_sel:DWORD src1_sel:WORD_1
	v_fma_f16 v42, v17, v7, -v42
	v_fma_f16 v13, v13, v43, v21
	v_fma_f16 v6, v6, v40, v20
	;; [unrolled: 1-line block ×5, first 2 shown]
	v_add_f16_e32 v20, v6, v13
	v_add_f16_e32 v18, v9, v8
	;; [unrolled: 1-line block ×3, first 2 shown]
	v_sub_f16_e32 v6, v6, v13
	v_sub_f16_e32 v8, v9, v8
	;; [unrolled: 1-line block ×4, first 2 shown]
	v_add_f16_e32 v29, v29, v31
	v_add_f16_e32 v40, v42, v48
	v_sub_f16_e32 v9, v6, v8
	v_sub_f16_e32 v11, v8, v7
	v_add_f16_e32 v8, v8, v7
	v_sub_f16_e32 v37, v34, v35
	v_sub_f16_e32 v49, v42, v48
	v_add_f16_e32 v31, v34, v35
	v_add_f16_e32 v42, v29, v40
	;; [unrolled: 1-line block ×3, first 2 shown]
	v_sub_f16_e32 v6, v7, v6
	v_sub_f16_e32 v39, v33, v37
	v_sub_f16_e32 v50, v37, v49
	v_add_f16_e32 v37, v37, v49
	v_add_f16_e32 v36, v20, v12
	v_sub_f16_e32 v34, v29, v31
	v_sub_f16_e32 v41, v31, v40
	v_add_f16_e32 v31, v31, v42
	v_mul_f16_e32 v11, 0xb846, v11
	v_mul_f16_e32 v7, 0x3b00, v6
	v_add_f16_e32 v37, v33, v37
	v_sub_f16_e32 v19, v20, v18
	v_sub_f16_e32 v17, v18, v12
	v_add_f16_e32 v18, v18, v36
	v_mul_f16_e32 v35, 0x3a52, v34
	v_mul_f16_e32 v41, 0x2b26, v41
	v_add_f16_e32 v3, v3, v31
	v_fma_f16 v13, v9, s1, v11
	v_sub_f16_e32 v33, v49, v33
	v_sub_f16_e32 v29, v40, v29
	v_fma_f16 v7, v9, s5, -v7
	v_fma_f16 v6, v6, s4, -v11
	v_mul_f16_e32 v50, 0xb846, v50
	v_mul_f16_e32 v21, 0x3a52, v19
	;; [unrolled: 1-line block ×3, first 2 shown]
	s_waitcnt lgkmcnt(0)
	v_add_f16_e32 v36, v47, v18
	v_fma_f16 v31, v31, s3, v3
	v_fma_f16 v13, v8, s0, v13
	v_mul_f16_e32 v43, 0x3b00, v33
	v_sub_f16_e32 v12, v12, v20
	v_fma_f16 v35, v29, s8, -v35
	v_fma_f16 v7, v8, s0, v7
	v_fma_f16 v6, v8, s0, v6
	v_fma_f16 v8, v29, s9, -v41
	v_fma_f16 v51, v39, s1, v50
	v_fma_f16 v19, v19, s2, v17
	;; [unrolled: 1-line block ×3, first 2 shown]
	v_fma_f16 v39, v39, s5, -v43
	v_fma_f16 v20, v12, s8, -v21
	v_add_f16_e32 v35, v35, v31
	v_fma_f16 v9, v12, s9, -v17
	v_fma_f16 v12, v33, s4, -v50
	v_add_f16_e32 v8, v8, v31
	v_fma_f16 v51, v37, s0, v51
	v_add_f16_e32 v19, v19, v18
	v_fma_f16 v39, v37, s0, v39
	v_add_f16_e32 v20, v20, v18
	v_sub_f16_e32 v40, v35, v7
	v_add_f16_e32 v9, v9, v18
	v_fma_f16 v12, v37, s0, v12
	v_add_f16_e32 v11, v6, v8
	v_sub_f16_e32 v18, v8, v6
	v_add_f16_e32 v29, v7, v35
	v_mad_u64_u32 v[6:7], s[0:1], s16, v10, 0
	v_mov_b32_e32 v8, v7
	v_sub_f16_e32 v17, v9, v12
	v_add_f16_e32 v12, v12, v9
	v_mad_u64_u32 v[8:9], s[0:1], s17, v10, v[8:9]
	v_mov_b32_e32 v7, v8
	v_lshl_add_u64 v[4:5], v[6:7], 2, v[0:1]
	v_pack_b32_f16 v3, v3, v36
	global_store_dword v[4:5], v3, off
	v_mad_u64_u32 v[4:5], s[0:1], s16, v16, 0
	v_fma_f16 v34, v34, s2, v41
	v_mov_b32_e32 v6, v5
	v_add_f16_e32 v34, v34, v31
	v_mad_u64_u32 v[6:7], s[0:1], s17, v16, v[6:7]
	v_add_f16_e32 v38, v51, v19
	v_sub_f16_e32 v42, v34, v13
	v_sub_f16_e32 v19, v19, v51
	v_add_f16_e32 v13, v13, v34
	v_mov_b32_e32 v5, v6
	v_lshl_add_u64 v[4:5], v[4:5], 2, v[0:1]
	v_pack_b32_f16 v3, v13, v19
	global_store_dword v[4:5], v3, off
	v_add_u32_e32 v3, 0x154, v10
	v_mad_u64_u32 v[4:5], s[0:1], s16, v3, 0
	v_mov_b32_e32 v6, v5
	v_mad_u64_u32 v[6:7], s[0:1], s17, v3, v[6:7]
	v_add_f16_e32 v21, v39, v20
	v_sub_f16_e32 v20, v20, v39
	v_mov_b32_e32 v5, v6
	v_lshl_add_u64 v[4:5], v[4:5], 2, v[0:1]
	v_pack_b32_f16 v3, v29, v20
	global_store_dword v[4:5], v3, off
	v_mad_u64_u32 v[4:5], s[0:1], s16, v15, 0
	v_mov_b32_e32 v6, v5
	v_mad_u64_u32 v[6:7], s[0:1], s17, v15, v[6:7]
	v_mov_b32_e32 v5, v6
	v_lshl_add_u64 v[4:5], v[4:5], 2, v[0:1]
	v_pack_b32_f16 v3, v18, v12
	global_store_dword v[4:5], v3, off
	v_add_u32_e32 v3, 0x2a8, v10
	v_mad_u64_u32 v[4:5], s[0:1], s16, v3, 0
	v_mov_b32_e32 v6, v5
	v_mad_u64_u32 v[6:7], s[0:1], s17, v3, v[6:7]
	v_mov_b32_e32 v5, v6
	v_lshl_add_u64 v[4:5], v[4:5], 2, v[0:1]
	v_pack_b32_f16 v3, v11, v17
	global_store_dword v[4:5], v3, off
	v_add_u32_e32 v3, 0x352, v10
	;; [unrolled: 8-line block ×3, first 2 shown]
	v_mad_u64_u32 v[4:5], s[0:1], s16, v3, 0
	v_mov_b32_e32 v6, v5
	v_mad_u64_u32 v[6:7], s[0:1], s17, v3, v[6:7]
	v_mov_b32_e32 v5, v6
	v_lshl_add_u64 v[4:5], v[4:5], 2, v[0:1]
	v_pack_b32_f16 v3, v42, v38
	s_mov_b32 s0, 0xc0c0c0c1
	global_store_dword v[4:5], v3, off
	v_mul_hi_u32 v3, v2, s0
	s_movk_i32 s2, 0x3fc
	v_lshrrev_b32_e32 v3, 7, v3
	v_mad_u32_u24 v6, v3, s2, v2
	v_mad_u64_u32 v[2:3], s[0:1], s16, v6, 0
	v_mov_b32_e32 v4, v3
	v_mad_u64_u32 v[4:5], s[0:1], s17, v6, v[4:5]
	v_mov_b32_e32 v3, v4
	v_lshl_add_u64 v[2:3], v[2:3], 2, v[0:1]
	v_pack_b32_f16 v4, v24, v46
	v_add_u32_e32 v5, 0xaa, v6
	global_store_dword v[2:3], v4, off
	v_mad_u64_u32 v[2:3], s[0:1], s16, v5, 0
	v_mov_b32_e32 v4, v3
	v_mad_u64_u32 v[4:5], s[0:1], s17, v5, v[4:5]
	v_mov_b32_e32 v3, v4
	v_lshl_add_u64 v[2:3], v[2:3], 2, v[0:1]
	v_pack_b32_f16 v4, v28, v27
	v_add_u32_e32 v5, 0x154, v6
	global_store_dword v[2:3], v4, off
	;; [unrolled: 8-line block ×6, first 2 shown]
	v_mad_u64_u32 v[2:3], s[0:1], s16, v5, 0
	v_mov_b32_e32 v4, v3
	v_mad_u64_u32 v[4:5], s[0:1], s17, v5, v[4:5]
	v_mov_b32_e32 v3, v4
	v_lshl_add_u64 v[0:1], v[2:3], 2, v[0:1]
	v_pack_b32_f16 v2, v55, v54
	global_store_dword v[0:1], v2, off
.LBB0_24:
	s_endpgm
	.section	.rodata,"a",@progbits
	.p2align	6, 0x0
	.amdhsa_kernel fft_rtc_fwd_len1190_factors_17_2_5_7_wgs_255_tpt_85_halfLds_half_op_CI_CI_sbrr_dirReg
		.amdhsa_group_segment_fixed_size 0
		.amdhsa_private_segment_fixed_size 0
		.amdhsa_kernarg_size 104
		.amdhsa_user_sgpr_count 2
		.amdhsa_user_sgpr_dispatch_ptr 0
		.amdhsa_user_sgpr_queue_ptr 0
		.amdhsa_user_sgpr_kernarg_segment_ptr 1
		.amdhsa_user_sgpr_dispatch_id 0
		.amdhsa_user_sgpr_kernarg_preload_length 0
		.amdhsa_user_sgpr_kernarg_preload_offset 0
		.amdhsa_user_sgpr_private_segment_size 0
		.amdhsa_uses_dynamic_stack 0
		.amdhsa_enable_private_segment 0
		.amdhsa_system_sgpr_workgroup_id_x 1
		.amdhsa_system_sgpr_workgroup_id_y 0
		.amdhsa_system_sgpr_workgroup_id_z 0
		.amdhsa_system_sgpr_workgroup_info 0
		.amdhsa_system_vgpr_workitem_id 0
		.amdhsa_next_free_vgpr 101
		.amdhsa_next_free_sgpr 45
		.amdhsa_accum_offset 104
		.amdhsa_reserve_vcc 1
		.amdhsa_float_round_mode_32 0
		.amdhsa_float_round_mode_16_64 0
		.amdhsa_float_denorm_mode_32 3
		.amdhsa_float_denorm_mode_16_64 3
		.amdhsa_dx10_clamp 1
		.amdhsa_ieee_mode 1
		.amdhsa_fp16_overflow 0
		.amdhsa_tg_split 0
		.amdhsa_exception_fp_ieee_invalid_op 0
		.amdhsa_exception_fp_denorm_src 0
		.amdhsa_exception_fp_ieee_div_zero 0
		.amdhsa_exception_fp_ieee_overflow 0
		.amdhsa_exception_fp_ieee_underflow 0
		.amdhsa_exception_fp_ieee_inexact 0
		.amdhsa_exception_int_div_zero 0
	.end_amdhsa_kernel
	.text
.Lfunc_end0:
	.size	fft_rtc_fwd_len1190_factors_17_2_5_7_wgs_255_tpt_85_halfLds_half_op_CI_CI_sbrr_dirReg, .Lfunc_end0-fft_rtc_fwd_len1190_factors_17_2_5_7_wgs_255_tpt_85_halfLds_half_op_CI_CI_sbrr_dirReg
                                        ; -- End function
	.section	.AMDGPU.csdata,"",@progbits
; Kernel info:
; codeLenInByte = 13652
; NumSgprs: 51
; NumVgprs: 101
; NumAgprs: 0
; TotalNumVgprs: 101
; ScratchSize: 0
; MemoryBound: 0
; FloatMode: 240
; IeeeMode: 1
; LDSByteSize: 0 bytes/workgroup (compile time only)
; SGPRBlocks: 6
; VGPRBlocks: 12
; NumSGPRsForWavesPerEU: 51
; NumVGPRsForWavesPerEU: 101
; AccumOffset: 104
; Occupancy: 4
; WaveLimiterHint : 1
; COMPUTE_PGM_RSRC2:SCRATCH_EN: 0
; COMPUTE_PGM_RSRC2:USER_SGPR: 2
; COMPUTE_PGM_RSRC2:TRAP_HANDLER: 0
; COMPUTE_PGM_RSRC2:TGID_X_EN: 1
; COMPUTE_PGM_RSRC2:TGID_Y_EN: 0
; COMPUTE_PGM_RSRC2:TGID_Z_EN: 0
; COMPUTE_PGM_RSRC2:TIDIG_COMP_CNT: 0
; COMPUTE_PGM_RSRC3_GFX90A:ACCUM_OFFSET: 25
; COMPUTE_PGM_RSRC3_GFX90A:TG_SPLIT: 0
	.text
	.p2alignl 6, 3212836864
	.fill 256, 4, 3212836864
	.type	__hip_cuid_16633a45b4ffab50,@object ; @__hip_cuid_16633a45b4ffab50
	.section	.bss,"aw",@nobits
	.globl	__hip_cuid_16633a45b4ffab50
__hip_cuid_16633a45b4ffab50:
	.byte	0                               ; 0x0
	.size	__hip_cuid_16633a45b4ffab50, 1

	.ident	"AMD clang version 19.0.0git (https://github.com/RadeonOpenCompute/llvm-project roc-6.4.0 25133 c7fe45cf4b819c5991fe208aaa96edf142730f1d)"
	.section	".note.GNU-stack","",@progbits
	.addrsig
	.addrsig_sym __hip_cuid_16633a45b4ffab50
	.amdgpu_metadata
---
amdhsa.kernels:
  - .agpr_count:     0
    .args:
      - .actual_access:  read_only
        .address_space:  global
        .offset:         0
        .size:           8
        .value_kind:     global_buffer
      - .offset:         8
        .size:           8
        .value_kind:     by_value
      - .actual_access:  read_only
        .address_space:  global
        .offset:         16
        .size:           8
        .value_kind:     global_buffer
      - .actual_access:  read_only
        .address_space:  global
        .offset:         24
        .size:           8
        .value_kind:     global_buffer
      - .actual_access:  read_only
        .address_space:  global
        .offset:         32
        .size:           8
        .value_kind:     global_buffer
      - .offset:         40
        .size:           8
        .value_kind:     by_value
      - .actual_access:  read_only
        .address_space:  global
        .offset:         48
        .size:           8
        .value_kind:     global_buffer
      - .actual_access:  read_only
        .address_space:  global
        .offset:         56
        .size:           8
        .value_kind:     global_buffer
      - .offset:         64
        .size:           4
        .value_kind:     by_value
      - .actual_access:  read_only
        .address_space:  global
        .offset:         72
        .size:           8
        .value_kind:     global_buffer
      - .actual_access:  read_only
        .address_space:  global
        .offset:         80
        .size:           8
        .value_kind:     global_buffer
      - .actual_access:  read_only
        .address_space:  global
        .offset:         88
        .size:           8
        .value_kind:     global_buffer
      - .actual_access:  write_only
        .address_space:  global
        .offset:         96
        .size:           8
        .value_kind:     global_buffer
    .group_segment_fixed_size: 0
    .kernarg_segment_align: 8
    .kernarg_segment_size: 104
    .language:       OpenCL C
    .language_version:
      - 2
      - 0
    .max_flat_workgroup_size: 255
    .name:           fft_rtc_fwd_len1190_factors_17_2_5_7_wgs_255_tpt_85_halfLds_half_op_CI_CI_sbrr_dirReg
    .private_segment_fixed_size: 0
    .sgpr_count:     51
    .sgpr_spill_count: 0
    .symbol:         fft_rtc_fwd_len1190_factors_17_2_5_7_wgs_255_tpt_85_halfLds_half_op_CI_CI_sbrr_dirReg.kd
    .uniform_work_group_size: 1
    .uses_dynamic_stack: false
    .vgpr_count:     101
    .vgpr_spill_count: 0
    .wavefront_size: 64
amdhsa.target:   amdgcn-amd-amdhsa--gfx950
amdhsa.version:
  - 1
  - 2
...

	.end_amdgpu_metadata
